;; amdgpu-corpus repo=ROCm/rocFFT kind=compiled arch=gfx1030 opt=O3
	.text
	.amdgcn_target "amdgcn-amd-amdhsa--gfx1030"
	.amdhsa_code_object_version 6
	.protected	bluestein_single_back_len945_dim1_sp_op_CI_CI ; -- Begin function bluestein_single_back_len945_dim1_sp_op_CI_CI
	.globl	bluestein_single_back_len945_dim1_sp_op_CI_CI
	.p2align	8
	.type	bluestein_single_back_len945_dim1_sp_op_CI_CI,@function
bluestein_single_back_len945_dim1_sp_op_CI_CI: ; @bluestein_single_back_len945_dim1_sp_op_CI_CI
; %bb.0:
	s_load_dwordx4 s[8:11], s[4:5], 0x28
	v_mul_u32_u24_e32 v1, 0x411, v0
	v_mov_b32_e32 v147, 0
	s_mov_b32 s0, exec_lo
	v_lshrrev_b32_e32 v1, 16, v1
	v_add_nc_u32_e32 v146, s6, v1
	s_waitcnt lgkmcnt(0)
	v_cmpx_gt_u64_e64 s[8:9], v[146:147]
	s_cbranch_execz .LBB0_10
; %bb.1:
	s_clause 0x1
	s_load_dwordx4 s[0:3], s[4:5], 0x18
	s_load_dwordx4 s[12:15], s[4:5], 0x0
	v_mul_lo_u16 v1, v1, 63
	v_mov_b32_e32 v48, 3
	v_sub_nc_u16 v40, v0, v1
	v_and_b32_e32 v174, 0xffff, v40
	v_and_b32_e32 v52, 0xff, v40
	v_lshlrev_b32_e32 v173, 3, v174
	v_add_co_u32 v49, null, v174, 63
	s_waitcnt lgkmcnt(0)
	s_load_dwordx4 s[16:19], s[0:1], 0x0
	s_clause 0x4
	global_load_dwordx2 v[153:154], v173, s[12:13]
	global_load_dwordx2 v[157:158], v173, s[12:13] offset:504
	global_load_dwordx2 v[155:156], v173, s[12:13] offset:1008
	;; [unrolled: 1-line block ×4, first 2 shown]
	v_add_co_u32 v6, s0, s12, v173
	v_add_co_ci_u32_e64 v7, null, s13, 0, s0
	v_add_co_u32 v41, null, 0x7e, v174
	v_add_co_u32 v2, vcc_lo, 0x800, v6
	v_add_co_ci_u32_e32 v3, vcc_lo, 0, v7, vcc_lo
	v_add_co_u32 v20, vcc_lo, 0x1000, v6
	v_add_co_ci_u32_e32 v21, vcc_lo, 0, v7, vcc_lo
	v_add_co_u32 v22, vcc_lo, 0x1800, v6
	v_add_co_ci_u32_e32 v23, vcc_lo, 0, v7, vcc_lo
	s_waitcnt lgkmcnt(0)
	v_mad_u64_u32 v[0:1], null, s18, v146, 0
	v_mad_u64_u32 v[4:5], null, s16, v174, 0
	s_clause 0x6
	global_load_dwordx2 v[167:168], v[20:21], off offset:944
	global_load_dwordx2 v[163:164], v[20:21], off offset:1448
	global_load_dwordx2 v[159:160], v[20:21], off offset:1952
	global_load_dwordx2 v[169:170], v[2:3], off offset:472
	global_load_dwordx2 v[165:166], v[2:3], off offset:976
	global_load_dwordx2 v[161:162], v[2:3], off offset:1480
	global_load_dwordx2 v[142:143], v[2:3], off offset:1984
	s_mul_i32 s0, s17, 0x9d8
	s_mul_hi_u32 s1, s16, 0x9d8
	v_mad_u64_u32 v[6:7], null, s19, v146, v[1:2]
	s_mul_i32 s6, s16, 0x9d8
	s_add_i32 s1, s1, s0
	s_mul_hi_u32 s8, s16, 0xffffee48
	s_mul_i32 s7, s17, 0xffffee48
	s_mul_i32 s9, s16, 0xffffee48
	s_sub_i32 s0, s8, s16
	v_mad_u64_u32 v[7:8], null, s17, v174, v[5:6]
	v_mov_b32_e32 v1, v6
	s_add_i32 s0, s0, s7
	global_load_dwordx2 v[144:145], v[22:23], off offset:408
	v_and_b32_e32 v51, 0xff, v49
	v_and_b32_e32 v50, 0xff, v41
	v_lshlrev_b64 v[0:1], 3, v[0:1]
	v_mov_b32_e32 v5, v7
	v_add_nc_u32_e32 v45, 0x800, v173
	v_add_nc_u32_e32 v44, 0x1000, v173
	;; [unrolled: 1-line block ×4, first 2 shown]
	v_lshlrev_b64 v[2:3], 3, v[4:5]
	v_add_co_u32 v0, vcc_lo, s10, v0
	v_add_co_ci_u32_e32 v1, vcc_lo, s11, v1, vcc_lo
	v_add_nc_u32_e32 v46, 0x1800, v173
	v_add_co_u32 v0, vcc_lo, v0, v2
	v_add_co_ci_u32_e32 v1, vcc_lo, v1, v3, vcc_lo
	v_add_nc_u32_e32 v42, 0x1400, v173
	v_add_co_u32 v2, vcc_lo, v0, s6
	v_add_co_ci_u32_e32 v3, vcc_lo, s1, v1, vcc_lo
	s_clause 0x1
	global_load_dwordx2 v[28:29], v[0:1], off
	global_load_dwordx2 v[30:31], v[2:3], off
	v_add_co_u32 v4, vcc_lo, v2, s6
	v_add_co_ci_u32_e32 v5, vcc_lo, s1, v3, vcc_lo
	v_add_co_u32 v6, vcc_lo, v4, s9
	v_add_co_ci_u32_e32 v7, vcc_lo, s0, v5, vcc_lo
	global_load_dwordx2 v[18:19], v[4:5], off
	v_add_co_u32 v0, vcc_lo, v6, s6
	v_add_co_ci_u32_e32 v1, vcc_lo, s1, v7, vcc_lo
	s_clause 0x1
	global_load_dwordx2 v[32:33], v[6:7], off
	global_load_dwordx2 v[16:17], v[0:1], off
	v_add_co_u32 v2, vcc_lo, v0, s6
	v_add_co_ci_u32_e32 v3, vcc_lo, s1, v1, vcc_lo
	v_add_co_u32 v0, vcc_lo, v2, s9
	v_add_co_ci_u32_e32 v1, vcc_lo, s0, v3, vcc_lo
	global_load_dwordx2 v[10:11], v[2:3], off
	v_add_co_u32 v2, vcc_lo, v0, s6
	v_add_co_ci_u32_e32 v3, vcc_lo, s1, v1, vcc_lo
	global_load_dwordx2 v[8:9], v[0:1], off
	;; [unrolled: 3-line block ×8, first 2 shown]
	v_add_co_u32 v26, vcc_lo, v24, s6
	v_add_co_ci_u32_e32 v27, vcc_lo, s1, v25, vcc_lo
	global_load_dwordx2 v[149:150], v[20:21], off offset:440
	global_load_dwordx2 v[34:35], v[24:25], off
	global_load_dwordx2 v[151:152], v[22:23], off offset:912
	global_load_dwordx2 v[36:37], v[26:27], off
	v_mul_lo_u16 v22, v40, 3
	v_add_co_u32 v20, null, 0xbd, v174
	v_add_co_u32 v21, null, 0xfc, v174
	v_lshlrev_b32_sdwa v175, v48, v22 dst_sel:DWORD dst_unused:UNUSED_PAD src0_sel:DWORD src1_sel:WORD_0
	v_mul_lo_u16 v22, 0xab, v52
	v_mul_u32_u24_e32 v27, 3, v20
	v_mul_u32_u24_e32 v38, 3, v21
	;; [unrolled: 1-line block ×4, first 2 shown]
	v_lshrrev_b16 v23, 9, v22
	v_and_b32_e32 v22, 0xff, v20
	v_lshlrev_b32_e32 v177, 3, v27
	v_lshlrev_b32_e32 v176, 3, v38
	;; [unrolled: 1-line block ×3, first 2 shown]
	v_mul_lo_u16 v27, v23, 3
	v_mul_lo_u16 v38, 0xab, v22
	v_lshlrev_b32_e32 v178, 3, v26
	v_mul_lo_u16 v25, 0xab, v51
	v_mul_lo_u16 v26, 0xab, v50
	v_sub_nc_u16 v55, v40, v27
	v_lshrrev_b16 v27, 9, v38
	v_mov_b32_e32 v24, 0xaaab
	v_lshrrev_b16 v25, 9, v25
	v_lshrrev_b16 v26, 9, v26
	s_load_dwordx4 s[8:11], s[2:3], 0x0
	v_mul_lo_u16 v59, v27, 3
	v_mul_u32_u24_sdwa v24, v21, v24 dst_sel:DWORD dst_unused:UNUSED_PAD src0_sel:WORD_0 src1_sel:DWORD
	v_mul_lo_u16 v57, v25, 3
	v_mul_lo_u16 v58, v26, 3
	;; [unrolled: 1-line block ×3, first 2 shown]
	s_load_dwordx2 s[2:3], s[4:5], 0x38
	v_lshrrev_b32_e32 v24, 17, v24
	v_cmp_gt_u16_e32 vcc_lo, 9, v40
	v_mul_lo_u16 v56, v24, 3
	s_waitcnt vmcnt(16)
	v_mul_f32_e32 v38, v29, v154
	v_mul_f32_e32 v39, v28, v154
	s_waitcnt vmcnt(15)
	v_mul_f32_e32 v53, v31, v170
	v_mul_f32_e32 v54, v30, v170
	v_fmac_f32_e32 v38, v28, v153
	v_fma_f32 v39, v29, v153, -v39
	v_fmac_f32_e32 v53, v30, v169
	v_fma_f32 v54, v31, v169, -v54
	s_waitcnt vmcnt(14)
	v_mul_f32_e32 v28, v19, v168
	v_mul_f32_e32 v29, v18, v168
	ds_write_b64 v173, v[53:54] offset:2520
	v_fmac_f32_e32 v28, v18, v167
	v_fma_f32 v29, v19, v167, -v29
	s_waitcnt vmcnt(13)
	v_mul_f32_e32 v30, v33, v158
	v_mul_f32_e32 v31, v32, v158
	s_waitcnt vmcnt(12)
	v_mul_f32_e32 v19, v16, v166
	v_mul_f32_e32 v18, v17, v166
	ds_write_b64 v173, v[28:29] offset:5040
	v_fmac_f32_e32 v30, v32, v157
	v_fma_f32 v31, v33, v157, -v31
	v_fma_f32 v19, v17, v165, -v19
	v_fmac_f32_e32 v18, v16, v165
	v_sub_nc_u16 v32, v21, v56
	s_waitcnt vmcnt(11)
	v_mul_f32_e32 v28, v11, v164
	v_mul_f32_e32 v17, v10, v164
	ds_write2_b64 v173, v[38:39], v[30:31] offset1:63
	v_fmac_f32_e32 v28, v10, v163
	s_waitcnt vmcnt(10)
	v_mul_f32_e32 v10, v9, v156
	v_mul_f32_e32 v31, v8, v156
	v_fma_f32 v29, v11, v163, -v17
	s_waitcnt vmcnt(9)
	v_mul_f32_e32 v16, v15, v162
	v_mul_f32_e32 v30, v14, v162
	v_fmac_f32_e32 v10, v8, v155
	v_fma_f32 v11, v9, v155, -v31
	s_waitcnt vmcnt(8)
	v_mul_f32_e32 v8, v5, v160
	v_mul_f32_e32 v9, v4, v160
	v_fmac_f32_e32 v16, v14, v161
	;; [unrolled: 5-line block ×3, first 2 shown]
	v_fma_f32 v9, v5, v159, -v9
	ds_write2_b64 v45, v[18:19], v[16:17] offset0:122 offset1:185
	s_waitcnt vmcnt(6)
	v_mul_f32_e32 v4, v1, v143
	v_mul_f32_e32 v5, v0, v143
	v_fmac_f32_e32 v14, v6, v147
	v_fma_f32 v15, v7, v147, -v15
	v_sub_nc_u16 v17, v41, v58
	s_waitcnt vmcnt(5)
	v_mul_f32_e32 v6, v3, v145
	v_mul_f32_e32 v7, v2, v145
	v_fmac_f32_e32 v4, v0, v142
	v_fma_f32 v5, v1, v142, -v5
	v_sub_nc_u16 v18, v20, v59
	s_waitcnt vmcnt(4)
	v_mul_f32_e32 v0, v13, v141
	v_mul_f32_e32 v1, v12, v141
	v_fmac_f32_e32 v6, v2, v144
	v_fma_f32 v7, v3, v144, -v7
	s_waitcnt vmcnt(2)
	v_mul_f32_e32 v2, v35, v150
	v_mul_f32_e32 v3, v34, v150
	v_fmac_f32_e32 v0, v12, v140
	s_waitcnt vmcnt(0)
	v_mul_f32_e32 v12, v37, v152
	v_mul_f32_e32 v16, v36, v152
	v_fma_f32 v1, v13, v140, -v1
	v_fmac_f32_e32 v2, v34, v149
	v_fma_f32 v3, v35, v149, -v3
	v_fmac_f32_e32 v12, v36, v151
	v_fma_f32 v13, v37, v151, -v16
	v_sub_nc_u16 v16, v49, v57
	ds_write2_b64 v44, v[28:29], v[8:9] offset0:181 offset1:244
	ds_write2_b64 v173, v[10:11], v[14:15] offset0:126 offset1:189
	ds_write_b64 v173, v[0:1] offset:2016
	ds_write2_b64 v43, v[4:5], v[2:3] offset0:120 offset1:183
	ds_write2_b64 v46, v[6:7], v[12:13] offset0:51 offset1:114
	s_waitcnt lgkmcnt(0)
	s_barrier
	buffer_gl0_inv
	ds_read2_b64 v[0:3], v173 offset1:63
	ds_read2_b64 v[4:7], v47 offset0:124 offset1:187
	ds_read2_b64 v[8:11], v44 offset0:118 offset1:181
	;; [unrolled: 1-line block ×3, first 2 shown]
	v_and_b32_e32 v30, 0xff, v16
	v_and_b32_e32 v31, 0xff, v17
	;; [unrolled: 1-line block ×3, first 2 shown]
	ds_read2_b64 v[16:19], v173 offset0:126 offset1:189
	ds_read2_b64 v[33:36], v42 offset0:116 offset1:179
	v_and_b32_e32 v28, 0xff, v55
	ds_read2_b64 v[53:56], v43 offset0:120 offset1:183
	ds_read_b64 v[37:38], v173 offset:7056
	v_lshlrev_b32_e32 v57, 4, v30
	s_waitcnt lgkmcnt(0)
	s_barrier
	v_lshlrev_b32_e32 v39, 4, v28
	buffer_gl0_inv
	v_add_f32_e32 v58, v0, v6
	v_add_f32_e32 v59, v6, v8
	;; [unrolled: 1-line block ×6, first 2 shown]
	v_sub_f32_e32 v66, v13, v11
	v_add_f32_e32 v67, v3, v13
	v_sub_f32_e32 v69, v12, v10
	v_add_f32_e32 v12, v16, v14
	v_add_f32_e32 v70, v14, v33
	v_sub_f32_e32 v71, v15, v34
	v_add_f32_e32 v13, v17, v15
	;; [unrolled: 3-line block ×3, first 2 shown]
	v_sub_f32_e32 v60, v7, v9
	v_add_f32_e32 v61, v1, v7
	v_sub_f32_e32 v63, v6, v8
	v_add_f32_e32 v73, v53, v35
	;; [unrolled: 2-line block ×3, first 2 shown]
	v_add_f32_e32 v54, v54, v36
	v_add_f32_e32 v77, v55, v37
	v_sub_f32_e32 v78, v56, v38
	v_add_f32_e32 v79, v5, v56
	v_add_f32_e32 v56, v56, v38
	v_fma_f32 v0, -0.5, v59, v0
	v_fma_f32 v1, -0.5, v62, v1
	;; [unrolled: 1-line block ×3, first 2 shown]
	v_fmac_f32_e32 v3, -0.5, v68
	v_sub_f32_e32 v76, v53, v35
	v_add_f32_e32 v53, v4, v55
	v_add_f32_e32 v6, v58, v8
	;; [unrolled: 1-line block ×5, first 2 shown]
	v_fma_f32 v14, -0.5, v70, v16
	v_fma_f32 v15, -0.5, v15, v17
	v_sub_f32_e32 v80, v55, v37
	v_add_f32_e32 v7, v61, v9
	v_add_f32_e32 v9, v67, v11
	;; [unrolled: 1-line block ×3, first 2 shown]
	v_fma_f32 v18, -0.5, v73, v18
	v_fmac_f32_e32 v19, -0.5, v54
	v_fma_f32 v4, -0.5, v77, v4
	v_fmac_f32_e32 v5, -0.5, v56
	v_fmamk_f32 v33, v60, 0x3f5db3d7, v0
	v_fmamk_f32 v34, v63, 0xbf5db3d7, v1
	v_fmac_f32_e32 v0, 0xbf5db3d7, v60
	v_fmac_f32_e32 v1, 0x3f5db3d7, v63
	v_add_f32_e32 v13, v75, v36
	v_fmamk_f32 v35, v66, 0x3f5db3d7, v2
	v_fmamk_f32 v36, v69, 0xbf5db3d7, v3
	v_fmac_f32_e32 v2, 0xbf5db3d7, v66
	v_fmac_f32_e32 v3, 0x3f5db3d7, v69
	v_add_f32_e32 v16, v53, v37
	v_add_f32_e32 v17, v79, v38
	v_fmamk_f32 v37, v71, 0x3f5db3d7, v14
	v_fmamk_f32 v38, v72, 0xbf5db3d7, v15
	v_fmac_f32_e32 v14, 0xbf5db3d7, v71
	v_fmac_f32_e32 v15, 0x3f5db3d7, v72
	v_fmamk_f32 v53, v74, 0x3f5db3d7, v18
	v_fmac_f32_e32 v18, 0xbf5db3d7, v74
	v_fmamk_f32 v54, v76, 0xbf5db3d7, v19
	;; [unrolled: 2-line block ×4, first 2 shown]
	v_fmac_f32_e32 v5, 0x3f5db3d7, v80
	ds_write2_b64 v175, v[6:7], v[33:34] offset1:1
	ds_write_b64 v175, v[0:1] offset:16
	ds_write2_b64 v179, v[8:9], v[35:36] offset1:1
	ds_write_b64 v179, v[2:3] offset:16
	;; [unrolled: 2-line block ×5, first 2 shown]
	v_lshlrev_b32_e32 v0, 4, v31
	v_lshlrev_b16 v1, 1, v32
	v_lshlrev_b32_e32 v2, 4, v29
	s_waitcnt lgkmcnt(0)
	s_barrier
	buffer_gl0_inv
	s_clause 0x2
	global_load_dwordx4 v[16:19], v39, s[14:15]
	global_load_dwordx4 v[12:15], v0, s[14:15]
	;; [unrolled: 1-line block ×3, first 2 shown]
	v_lshlrev_b32_sdwa v0, v48, v1 dst_sel:DWORD dst_unused:UNUSED_PAD src0_sel:DWORD src1_sel:WORD_0
	s_clause 0x1
	global_load_dwordx4 v[4:7], v2, s[14:15]
	global_load_dwordx4 v[0:3], v0, s[14:15]
	v_mul_lo_u16 v33, v52, 57
	v_mov_b32_e32 v34, 0xe38f
	v_mul_lo_u16 v37, v50, 57
	v_mov_b32_e32 v35, 9
	v_lshrrev_b16 v56, 9, v22
	v_lshrrev_b16 v74, 9, v33
	v_mul_u32_u24_sdwa v33, v21, v34 dst_sel:DWORD dst_unused:UNUSED_PAD src0_sel:WORD_0 src1_sel:DWORD
	v_mul_lo_u16 v34, v51, 57
	v_lshrrev_b16 v55, 9, v37
	v_mul_u32_u24_sdwa v23, v23, v35 dst_sel:DWORD dst_unused:UNUSED_PAD src0_sel:WORD_0 src1_sel:DWORD
	v_mul_lo_u16 v36, v74, 9
	v_lshrrev_b32_e32 v53, 19, v33
	v_lshrrev_b16 v54, 9, v34
	v_mul_u32_u24_sdwa v34, v25, v35 dst_sel:DWORD dst_unused:UNUSED_PAD src0_sel:WORD_0 src1_sel:DWORD
	v_add_lshl_u32 v183, v23, v28, 3
	v_sub_nc_u16 v33, v40, v36
	v_mul_u32_u24_sdwa v36, v26, v35 dst_sel:DWORD dst_unused:UNUSED_PAD src0_sel:WORD_0 src1_sel:DWORD
	v_mul_lo_u16 v25, v54, 9
	v_mul_u32_u24_sdwa v35, v27, v35 dst_sel:DWORD dst_unused:UNUSED_PAD src0_sel:WORD_0 src1_sel:DWORD
	v_mul_lo_u16 v26, v55, 9
	v_mul_lo_u16 v27, v56, 9
	;; [unrolled: 1-line block ×3, first 2 shown]
	v_mad_u16 v28, v24, 9, v32
	v_sub_nc_u16 v24, v49, v25
	v_and_b32_e32 v57, 0xff, v33
	v_sub_nc_u16 v32, v41, v26
	v_sub_nc_u16 v33, v20, v27
	;; [unrolled: 1-line block ×3, first 2 shown]
	ds_read2_b64 v[20:23], v44 offset0:118 offset1:181
	v_and_b32_e32 v59, 0xff, v24
	ds_read2_b64 v[24:27], v45 offset0:122 offset1:185
	v_lshlrev_b32_sdwa v180, v48, v28 dst_sel:DWORD dst_unused:UNUSED_PAD src0_sel:DWORD src1_sel:WORD_0
	v_and_b32_e32 v60, 0xff, v32
	v_and_b32_e32 v61, 0xff, v33
	v_add_lshl_u32 v184, v34, v30, 3
	v_add_lshl_u32 v182, v36, v31, 3
	ds_read2_b64 v[30:33], v42 offset0:116 offset1:179
	v_add_lshl_u32 v181, v35, v29, 3
	ds_read2_b64 v[34:37], v43 offset0:120 offset1:183
	ds_read2_b64 v[62:65], v47 offset0:124 offset1:187
	ds_read2_b64 v[66:69], v173 offset1:63
	ds_read_b64 v[28:29], v173 offset:7056
	ds_read2_b64 v[70:73], v173 offset0:126 offset1:189
	v_lshlrev_b16 v76, 4, v58
	s_waitcnt vmcnt(0) lgkmcnt(0)
	s_barrier
	buffer_gl0_inv
	v_lshlrev_b32_e32 v75, 4, v57
	v_lshlrev_b32_e32 v78, 4, v60
	;; [unrolled: 1-line block ×3, first 2 shown]
	v_mul_lo_u16 v52, v52, 19
	v_mul_lo_u16 v51, v51, 19
	;; [unrolled: 1-line block ×3, first 2 shown]
	v_mad_u16 v58, v53, 27, v58
	v_lshlrev_b32_sdwa v188, v48, v58 dst_sel:DWORD dst_unused:UNUSED_PAD src0_sel:DWORD src1_sel:WORD_0
	v_mul_f32_e32 v38, v21, v19
	v_mul_f32_e32 v39, v20, v19
	;; [unrolled: 1-line block ×20, first 2 shown]
	v_fma_f32 v20, v20, v18, -v38
	v_fmac_f32_e32 v39, v21, v18
	v_fmac_f32_e32 v80, v25, v8
	;; [unrolled: 1-line block ×3, first 2 shown]
	v_fma_f32 v25, v64, v16, -v93
	v_fma_f32 v38, v22, v10, -v81
	v_fmac_f32_e32 v82, v23, v10
	v_fma_f32 v21, v24, v8, -v79
	v_fma_f32 v22, v26, v12, -v83
	v_fmac_f32_e32 v84, v27, v12
	v_fma_f32 v26, v30, v14, -v85
	v_fmac_f32_e32 v86, v31, v14
	v_fma_f32 v23, v34, v4, -v87
	v_fma_f32 v24, v36, v0, -v91
	;; [unrolled: 1-line block ×3, first 2 shown]
	v_fmac_f32_e32 v90, v33, v6
	v_fmac_f32_e32 v88, v35, v4
	;; [unrolled: 1-line block ×3, first 2 shown]
	v_fma_f32 v32, v28, v2, -v95
	v_fmac_f32_e32 v96, v29, v2
	v_add_f32_e32 v28, v94, v39
	v_add_f32_e32 v31, v25, v20
	;; [unrolled: 1-line block ×5, first 2 shown]
	v_sub_f32_e32 v37, v25, v20
	v_add_f32_e32 v25, v69, v80
	v_sub_f32_e32 v64, v80, v82
	v_add_f32_e32 v80, v22, v26
	;; [unrolled: 2-line block ×3, first 2 shown]
	v_add_f32_e32 v84, v84, v86
	v_add_f32_e32 v87, v72, v23
	;; [unrolled: 1-line block ×4, first 2 shown]
	v_sub_f32_e32 v36, v94, v39
	v_add_f32_e32 v34, v68, v21
	v_add_f32_e32 v79, v70, v22
	v_sub_f32_e32 v85, v22, v26
	v_add_f32_e32 v89, v23, v30
	v_add_f32_e32 v91, v73, v88
	;; [unrolled: 3-line block ×3, first 2 shown]
	v_sub_f32_e32 v97, v23, v30
	v_sub_f32_e32 v98, v92, v96
	v_add_f32_e32 v92, v92, v96
	v_add_f32_e32 v99, v24, v32
	v_fma_f32 v22, -0.5, v31, v66
	v_fma_f32 v23, -0.5, v28, v67
	v_sub_f32_e32 v65, v21, v38
	v_fma_f32 v68, -0.5, v35, v68
	v_fmac_f32_e32 v69, -0.5, v33
	v_sub_f32_e32 v100, v24, v32
	v_add_f32_e32 v28, v87, v30
	v_add_f32_e32 v30, v95, v32
	v_fma_f32 v32, -0.5, v80, v70
	v_fma_f32 v33, -0.5, v84, v71
	v_add_f32_e32 v21, v27, v39
	v_add_f32_e32 v20, v29, v20
	;; [unrolled: 1-line block ×3, first 2 shown]
	v_fma_f32 v72, -0.5, v89, v72
	v_fmac_f32_e32 v73, -0.5, v88
	v_fma_f32 v62, -0.5, v99, v62
	v_fmac_f32_e32 v63, -0.5, v92
	v_fmamk_f32 v34, v36, 0x3f5db3d7, v22
	v_fmamk_f32 v35, v37, 0xbf5db3d7, v23
	v_fmac_f32_e32 v22, 0xbf5db3d7, v36
	v_fmac_f32_e32 v23, 0x3f5db3d7, v37
	v_add_f32_e32 v25, v25, v82
	v_fmamk_f32 v36, v64, 0x3f5db3d7, v68
	v_fmamk_f32 v37, v65, 0xbf5db3d7, v69
	v_fmac_f32_e32 v68, 0xbf5db3d7, v64
	v_fmac_f32_e32 v69, 0x3f5db3d7, v65
	v_add_f32_e32 v26, v79, v26
	v_add_f32_e32 v27, v83, v86
	v_fmamk_f32 v38, v81, 0x3f5db3d7, v32
	v_fmamk_f32 v39, v85, 0xbf5db3d7, v33
	v_add_f32_e32 v29, v91, v90
	v_add_f32_e32 v31, v94, v96
	v_fmac_f32_e32 v32, 0xbf5db3d7, v81
	v_fmac_f32_e32 v33, 0x3f5db3d7, v85
	v_fmamk_f32 v64, v93, 0x3f5db3d7, v72
	v_fmac_f32_e32 v72, 0xbf5db3d7, v93
	v_fmamk_f32 v65, v97, 0xbf5db3d7, v73
	v_fmac_f32_e32 v73, 0x3f5db3d7, v97
	v_fmamk_f32 v66, v98, 0x3f5db3d7, v62
	v_fmac_f32_e32 v62, 0xbf5db3d7, v98
	v_fmamk_f32 v67, v100, 0xbf5db3d7, v63
	v_fmac_f32_e32 v63, 0x3f5db3d7, v100
	ds_write2_b64 v183, v[20:21], v[34:35] offset1:3
	ds_write_b64 v183, v[22:23] offset:48
	ds_write2_b64 v184, v[24:25], v[36:37] offset1:3
	ds_write_b64 v184, v[68:69] offset:48
	;; [unrolled: 2-line block ×5, first 2 shown]
	v_and_b32_e32 v20, 0xffff, v76
	v_lshlrev_b32_e32 v21, 4, v61
	s_waitcnt lgkmcnt(0)
	s_barrier
	buffer_gl0_inv
	v_add_co_u32 v32, s0, s14, v20
	s_clause 0x2
	global_load_dwordx4 v[36:39], v75, s[14:15] offset:48
	global_load_dwordx4 v[28:31], v77, s[14:15] offset:48
	global_load_dwordx4 v[24:27], v78, s[14:15] offset:48
	v_add_co_ci_u32_e64 v33, null, s15, 0, s0
	s_clause 0x1
	global_load_dwordx4 v[20:23], v21, s[14:15] offset:48
	global_load_dwordx4 v[32:35], v[32:33], off offset:48
	v_lshrrev_b16 v76, 9, v52
	v_mov_b32_e32 v63, 27
	v_lshrrev_b16 v81, 9, v51
	v_mul_lo_u16 v52, v74, 27
	v_lshrrev_b16 v82, 9, v50
	v_mul_lo_u16 v62, v76, 27
	v_mul_u32_u24_sdwa v64, v54, v63 dst_sel:DWORD dst_unused:UNUSED_PAD src0_sel:WORD_0 src1_sel:DWORD
	v_mul_lo_u16 v54, v81, 27
	v_and_b32_e32 v52, 0xff, v52
	v_mul_u32_u24_sdwa v66, v55, v63 dst_sel:DWORD dst_unused:UNUSED_PAD src0_sel:WORD_0 src1_sel:DWORD
	v_mul_lo_u16 v55, v82, 27
	v_sub_nc_u16 v62, v40, v62
	v_mul_u32_u24_sdwa v67, v56, v63 dst_sel:DWORD dst_unused:UNUSED_PAD src0_sel:WORD_0 src1_sel:DWORD
	v_sub_nc_u16 v49, v49, v54
	v_add_lshl_u32 v191, v52, v57, 3
	ds_read2_b64 v[50:53], v44 offset0:118 offset1:181
	v_sub_nc_u16 v84, v41, v55
	ds_read2_b64 v[54:57], v45 offset0:122 offset1:185
	v_and_b32_e32 v89, 0xff, v62
	v_and_b32_e32 v90, 0xff, v49
	v_add_lshl_u32 v192, v64, v59, 3
	ds_read2_b64 v[62:65], v42 offset0:116 offset1:179
	v_add_lshl_u32 v190, v66, v60, 3
	v_add_lshl_u32 v189, v67, v61, 3
	ds_read2_b64 v[58:61], v43 offset0:120 offset1:183
	ds_read2_b64 v[66:69], v47 offset0:124 offset1:187
	ds_read2_b64 v[70:73], v173 offset1:63
	ds_read_b64 v[48:49], v173 offset:7056
	ds_read2_b64 v[77:80], v173 offset0:126 offset1:189
	v_lshlrev_b32_e32 v83, 5, v89
	v_lshlrev_b32_e32 v85, 5, v90
	s_waitcnt vmcnt(0) lgkmcnt(0)
	s_barrier
	buffer_gl0_inv
	v_mul_f32_e32 v74, v51, v39
	v_mul_f32_e32 v75, v50, v39
	;; [unrolled: 1-line block ×20, first 2 shown]
	v_fma_f32 v50, v50, v38, -v74
	v_fmac_f32_e32 v75, v51, v38
	v_fmac_f32_e32 v93, v57, v24
	;; [unrolled: 1-line block ×3, first 2 shown]
	v_fma_f32 v57, v68, v36, -v102
	v_fma_f32 v52, v52, v30, -v86
	v_fmac_f32_e32 v87, v53, v30
	v_fma_f32 v51, v54, v28, -v88
	v_fmac_f32_e32 v91, v55, v28
	v_fma_f32 v53, v56, v24, -v92
	v_fma_f32 v54, v62, v26, -v94
	v_fmac_f32_e32 v95, v63, v26
	v_fma_f32 v62, v64, v22, -v96
	v_fmac_f32_e32 v97, v65, v22
	v_fma_f32 v55, v58, v20, -v98
	v_fmac_f32_e32 v99, v59, v20
	v_fma_f32 v56, v60, v32, -v100
	v_fmac_f32_e32 v101, v61, v32
	v_fma_f32 v60, v48, v34, -v104
	v_fmac_f32_e32 v105, v49, v34
	v_add_f32_e32 v48, v71, v103
	v_add_f32_e32 v58, v103, v75
	;; [unrolled: 1-line block ×6, first 2 shown]
	v_sub_f32_e32 v64, v103, v75
	v_sub_f32_e32 v65, v57, v50
	v_add_f32_e32 v57, v73, v91
	v_add_f32_e32 v92, v93, v95
	v_add_f32_e32 v94, v53, v54
	v_add_f32_e32 v98, v80, v99
	v_sub_f32_e32 v100, v99, v97
	v_add_f32_e32 v99, v99, v97
	v_add_f32_e32 v103, v55, v62
	v_add_f32_e32 v106, v67, v101
	v_sub_f32_e32 v107, v101, v105
	v_add_f32_e32 v101, v101, v105
	v_add_f32_e32 v109, v56, v60
	v_add_f32_e32 v69, v72, v51
	;; [unrolled: 4-line block ×3, first 2 shown]
	v_fma_f32 v50, -0.5, v61, v70
	v_fma_f32 v51, -0.5, v58, v71
	v_sub_f32_e32 v68, v91, v87
	v_fma_f32 v72, -0.5, v74, v72
	v_fmac_f32_e32 v73, -0.5, v63
	v_add_f32_e32 v88, v78, v93
	v_sub_f32_e32 v91, v93, v95
	v_add_f32_e32 v93, v77, v53
	v_sub_f32_e32 v96, v53, v54
	v_sub_f32_e32 v104, v55, v62
	v_add_f32_e32 v108, v66, v56
	v_sub_f32_e32 v110, v56, v60
	v_add_f32_e32 v53, v57, v87
	v_fma_f32 v56, -0.5, v94, v77
	v_fma_f32 v57, -0.5, v92, v78
	;; [unrolled: 1-line block ×3, first 2 shown]
	v_fmac_f32_e32 v80, -0.5, v99
	v_fma_f32 v66, -0.5, v109, v66
	v_fmac_f32_e32 v67, -0.5, v101
	v_add_f32_e32 v59, v98, v97
	v_add_f32_e32 v58, v102, v62
	v_fmamk_f32 v62, v64, 0x3f5db3d7, v50
	v_fmamk_f32 v63, v65, 0xbf5db3d7, v51
	v_and_b32_e32 v97, 0xff, v84
	v_fmac_f32_e32 v50, 0xbf5db3d7, v64
	v_fmac_f32_e32 v51, 0x3f5db3d7, v65
	v_add_f32_e32 v52, v69, v52
	v_fmamk_f32 v64, v68, 0x3f5db3d7, v72
	v_fmamk_f32 v65, v86, 0xbf5db3d7, v73
	v_fmac_f32_e32 v72, 0xbf5db3d7, v68
	v_fmac_f32_e32 v73, 0x3f5db3d7, v86
	v_add_f32_e32 v55, v88, v95
	v_add_f32_e32 v54, v93, v54
	v_fmamk_f32 v68, v91, 0x3f5db3d7, v56
	v_fmamk_f32 v69, v96, 0xbf5db3d7, v57
	;; [unrolled: 1-line block ×6, first 2 shown]
	v_fmac_f32_e32 v66, 0xbf5db3d7, v107
	v_fmac_f32_e32 v67, 0x3f5db3d7, v110
	v_add_f32_e32 v61, v106, v105
	v_add_f32_e32 v60, v108, v60
	v_fmac_f32_e32 v56, 0xbf5db3d7, v91
	v_fmac_f32_e32 v57, 0x3f5db3d7, v96
	;; [unrolled: 1-line block ×4, first 2 shown]
	ds_write2_b64 v191, v[48:49], v[62:63] offset1:9
	ds_write_b64 v191, v[50:51] offset:144
	ds_write2_b64 v192, v[52:53], v[64:65] offset1:9
	ds_write_b64 v192, v[72:73] offset:144
	;; [unrolled: 2-line block ×5, first 2 shown]
	s_waitcnt lgkmcnt(0)
	s_barrier
	buffer_gl0_inv
	s_clause 0x2
	global_load_dwordx4 v[72:75], v83, s[14:15] offset:192
	global_load_dwordx4 v[64:67], v85, s[14:15] offset:192
	;; [unrolled: 1-line block ×3, first 2 shown]
	v_lshlrev_b32_e32 v48, 5, v97
	s_clause 0x2
	global_load_dwordx4 v[56:59], v85, s[14:15] offset:208
	global_load_dwordx4 v[60:63], v48, s[14:15] offset:192
	;; [unrolled: 1-line block ×3, first 2 shown]
	v_mov_b32_e32 v83, 0x87
	ds_read2_b64 v[48:51], v45 offset0:122 offset1:185
	ds_read2_b64 v[77:80], v42 offset0:116 offset1:179
	v_mul_u32_u24_sdwa v76, v76, v83 dst_sel:DWORD dst_unused:UNUSED_PAD src0_sel:WORD_0 src1_sel:DWORD
	v_mul_u32_u24_sdwa v91, v81, v83 dst_sel:DWORD dst_unused:UNUSED_PAD src0_sel:WORD_0 src1_sel:DWORD
	;; [unrolled: 1-line block ×3, first 2 shown]
	ds_read2_b64 v[81:84], v173 offset0:126 offset1:189
	ds_read2_b64 v[85:88], v43 offset0:120 offset1:183
	v_add_lshl_u32 v187, v76, v89, 3
	v_add_lshl_u32 v186, v91, v90, 3
	ds_read2_b64 v[89:92], v44 offset0:118 offset1:181
	ds_read2_b64 v[93:96], v47 offset0:124 offset1:187
	v_add_lshl_u32 v185, v98, v97, 3
	ds_read2_b64 v[100:103], v173 offset1:63
	ds_read_b64 v[97:98], v173 offset:7056
	s_waitcnt vmcnt(0) lgkmcnt(0)
	s_barrier
	buffer_gl0_inv
	v_mul_f32_e32 v47, v49, v75
	v_mul_f32_e32 v76, v48, v75
	;; [unrolled: 1-line block ×24, first 2 shown]
	v_fma_f32 v125, v48, v74, -v47
	v_fmac_f32_e32 v76, v49, v74
	v_fmac_f32_e32 v106, v78, v70
	v_fma_f32 v47, v83, v72, -v109
	v_fma_f32 v78, v87, v68, -v110
	v_fmac_f32_e32 v111, v88, v68
	v_fmac_f32_e32 v104, v51, v66
	v_fma_f32 v51, v77, v70, -v105
	v_fmac_f32_e32 v112, v84, v72
	v_fma_f32 v99, v50, v66, -v99
	v_fma_f32 v105, v79, v58, -v107
	v_fmac_f32_e32 v108, v80, v58
	v_fma_f32 v80, v89, v56, -v113
	v_fma_f32 v48, v93, v64, -v114
	v_fmac_f32_e32 v115, v90, v56
	v_fmac_f32_e32 v116, v94, v64
	v_fma_f32 v49, v95, v60, -v117
	v_fmac_f32_e32 v118, v96, v60
	v_fma_f32 v79, v85, v62, -v119
	;; [unrolled: 2-line block ×4, first 2 shown]
	v_fmac_f32_e32 v124, v98, v54
	v_add_f32_e32 v83, v125, v78
	v_add_f32_e32 v84, v76, v111
	;; [unrolled: 1-line block ×3, first 2 shown]
	v_sub_f32_e32 v50, v47, v125
	v_sub_f32_e32 v77, v51, v78
	v_add_f32_e32 v88, v101, v112
	v_add_f32_e32 v92, v47, v51
	v_add_f32_e32 v94, v112, v106
	v_sub_f32_e32 v85, v112, v76
	v_sub_f32_e32 v95, v112, v106
	;; [unrolled: 1-line block ×3, first 2 shown]
	v_add_f32_e32 v110, v99, v80
	v_add_f32_e32 v112, v48, v105
	;; [unrolled: 1-line block ×6, first 2 shown]
	v_sub_f32_e32 v96, v47, v51
	v_sub_f32_e32 v89, v125, v47
	;; [unrolled: 1-line block ×5, first 2 shown]
	v_add_f32_e32 v135, v79, v91
	v_add_f32_e32 v136, v49, v97
	;; [unrolled: 1-line block ×5, first 2 shown]
	v_fma_f32 v47, -0.5, v83, v100
	v_fma_f32 v48, -0.5, v84, v101
	v_add_f32_e32 v83, v87, v125
	v_sub_f32_e32 v98, v76, v111
	v_sub_f32_e32 v107, v125, v78
	;; [unrolled: 1-line block ×5, first 2 shown]
	v_add_f32_e32 v203, v50, v77
	v_add_f32_e32 v84, v88, v76
	v_fma_f32 v49, -0.5, v92, v100
	v_fma_f32 v50, -0.5, v94, v101
	v_sub_f32_e32 v86, v106, v111
	v_sub_f32_e32 v128, v104, v115
	;; [unrolled: 1-line block ×3, first 2 shown]
	v_fma_f32 v76, -0.5, v110, v102
	v_fma_f32 v102, -0.5, v112, v102
	;; [unrolled: 1-line block ×3, first 2 shown]
	v_fmac_f32_e32 v103, -0.5, v121
	v_sub_f32_e32 v129, v116, v108
	v_add_f32_e32 v87, v113, v99
	v_add_f32_e32 v88, v123, v104
	v_sub_f32_e32 v90, v78, v51
	v_sub_f32_e32 v109, v111, v106
	;; [unrolled: 1-line block ×3, first 2 shown]
	v_add_f32_e32 v193, v82, v118
	v_sub_f32_e32 v194, v120, v118
	v_sub_f32_e32 v196, v120, v122
	v_sub_f32_e32 v197, v118, v124
	v_sub_f32_e32 v198, v79, v91
	v_sub_f32_e32 v118, v118, v120
	v_sub_f32_e32 v202, v124, v122
	v_fma_f32 v100, -0.5, v135, v81
	v_fma_f32 v81, -0.5, v136, v81
	;; [unrolled: 1-line block ×3, first 2 shown]
	v_fmac_f32_e32 v82, -0.5, v172
	v_add_f32_e32 v92, v137, v79
	v_add_f32_e32 v94, v83, v78
	v_fmamk_f32 v78, v95, 0x3f737871, v47
	v_fmamk_f32 v79, v96, 0xbf737871, v48
	v_add_f32_e32 v111, v84, v111
	v_fmamk_f32 v83, v98, 0xbf737871, v49
	v_fmac_f32_e32 v49, 0x3f737871, v98
	v_fmamk_f32 v84, v107, 0x3f737871, v50
	v_fmac_f32_e32 v50, 0xbf737871, v107
	v_fmac_f32_e32 v47, 0xbf737871, v95
	;; [unrolled: 1-line block ×3, first 2 shown]
	v_sub_f32_e32 v126, v104, v116
	v_sub_f32_e32 v127, v115, v108
	v_add_f32_e32 v204, v85, v86
	v_fmamk_f32 v85, v128, 0xbf737871, v102
	v_fmac_f32_e32 v102, 0x3f737871, v128
	v_fmamk_f32 v86, v130, 0x3f737871, v103
	v_fmac_f32_e32 v103, 0xbf737871, v130
	v_sub_f32_e32 v116, v116, v104
	v_sub_f32_e32 v133, v105, v80
	;; [unrolled: 1-line block ×3, first 2 shown]
	v_add_f32_e32 v80, v87, v80
	v_add_f32_e32 v115, v88, v115
	v_fmamk_f32 v87, v129, 0x3f737871, v76
	v_fmamk_f32 v88, v131, 0xbf737871, v77
	v_sub_f32_e32 v139, v91, v97
	v_sub_f32_e32 v195, v122, v124
	;; [unrolled: 1-line block ×3, first 2 shown]
	v_add_f32_e32 v125, v89, v90
	v_add_f32_e32 v109, v93, v109
	v_add_f32_e32 v110, v114, v117
	v_add_f32_e32 v93, v193, v120
	v_add_f32_e32 v117, v118, v202
	v_fmac_f32_e32 v76, 0xbf737871, v129
	v_fmac_f32_e32 v77, 0x3f737871, v131
	v_fmamk_f32 v89, v196, 0xbf737871, v81
	v_fmac_f32_e32 v81, 0x3f737871, v196
	v_fmamk_f32 v90, v198, 0x3f737871, v82
	v_fmac_f32_e32 v82, 0xbf737871, v198
	v_add_f32_e32 v118, v92, v91
	v_fmamk_f32 v91, v197, 0x3f737871, v100
	v_fmamk_f32 v92, v199, 0xbf737871, v101
	v_fmac_f32_e32 v100, 0xbf737871, v197
	v_fmac_f32_e32 v101, 0x3f737871, v199
	;; [unrolled: 1-line block ×10, first 2 shown]
	v_add_f32_e32 v112, v126, v127
	v_fmac_f32_e32 v85, 0x3f167918, v129
	v_fmac_f32_e32 v102, 0xbf167918, v129
	;; [unrolled: 1-line block ×4, first 2 shown]
	v_add_f32_e32 v99, v132, v133
	v_add_f32_e32 v104, v116, v134
	v_fmac_f32_e32 v87, 0x3f167918, v128
	v_fmac_f32_e32 v88, 0xbf167918, v130
	v_add_f32_e32 v113, v138, v139
	v_add_f32_e32 v114, v194, v195
	;; [unrolled: 1-line block ×6, first 2 shown]
	v_fmac_f32_e32 v76, 0xbf167918, v128
	v_fmac_f32_e32 v77, 0x3f167918, v130
	;; [unrolled: 1-line block ×22, first 2 shown]
	v_add_f32_e32 v95, v80, v105
	v_add_f32_e32 v96, v115, v108
	v_fmac_f32_e32 v87, 0x3e9e377a, v99
	v_fmac_f32_e32 v88, 0x3e9e377a, v104
	v_add_f32_e32 v97, v118, v97
	v_add_f32_e32 v98, v119, v124
	v_fmac_f32_e32 v76, 0x3e9e377a, v99
	v_fmac_f32_e32 v77, 0x3e9e377a, v104
	;; [unrolled: 1-line block ×10, first 2 shown]
	ds_write2_b64 v187, v[93:94], v[78:79] offset1:27
	ds_write2_b64 v187, v[83:84], v[49:50] offset0:54 offset1:81
	ds_write_b64 v187, v[47:48] offset:864
	ds_write2_b64 v186, v[85:86], v[102:103] offset0:54 offset1:81
	ds_write2_b64 v186, v[95:96], v[87:88] offset1:27
	ds_write_b64 v186, v[76:77] offset:864
	ds_write2_b64 v185, v[89:90], v[81:82] offset0:54 offset1:81
	ds_write2_b64 v185, v[97:98], v[91:92] offset1:27
	ds_write_b64 v185, v[100:101] offset:864
	s_waitcnt lgkmcnt(0)
	s_barrier
	buffer_gl0_inv
	ds_read2_b64 v[132:135], v45 offset0:14 offset1:77
	ds_read2_b64 v[128:131], v45 offset0:149 offset1:212
	;; [unrolled: 1-line block ×5, first 2 shown]
	ds_read2_b64 v[104:107], v173 offset1:63
	ds_read2_b64 v[136:139], v173 offset0:135 offset1:198
                                        ; implicit-def: $vgpr171
                                        ; implicit-def: $vgpr110
                                        ; implicit-def: $vgpr114
	s_and_saveexec_b32 s0, vcc_lo
	s_cbranch_execz .LBB0_3
; %bb.2:
	v_add_nc_u32_e32 v40, 0x200, v173
	ds_read2_b64 v[108:111], v43 offset0:12 offset1:147
	ds_read2_b64 v[112:115], v42 offset0:26 offset1:161
	;; [unrolled: 1-line block ×3, first 2 shown]
	ds_read_b64 v[171:172], v173 offset:7488
.LBB0_3:
	s_or_b32 exec_lo, exec_lo, s0
	v_mad_u64_u32 v[42:43], null, v174, 48, s[14:15]
	v_add_nc_u32_e32 v40, -9, v174
	s_clause 0x2
	global_load_dwordx4 v[96:99], v[42:43], off offset:1056
	global_load_dwordx4 v[88:91], v[42:43], off offset:1072
	;; [unrolled: 1-line block ×3, first 2 shown]
	v_cndmask_b32_e32 v40, v40, v41, vcc_lo
	v_add_co_u32 v44, s0, 0x800, v42
	v_add_co_ci_u32_e64 v45, s0, 0, v43, s0
	v_mul_i32_i24_e32 v41, 48, v40
	v_add_co_u32 v42, s0, 0xff0, v42
	v_mul_hi_i32_i24_e32 v40, 48, v40
	v_add_co_ci_u32_e64 v43, s0, 0, v43, s0
	v_add_co_u32 v48, s0, s14, v41
	s_clause 0x2
	global_load_dwordx4 v[92:95], v[44:45], off offset:2032
	global_load_dwordx4 v[84:87], v[42:43], off offset:16
	;; [unrolled: 1-line block ×3, first 2 shown]
	v_add_co_ci_u32_e64 v49, s0, s15, v40, s0
	s_clause 0x2
	global_load_dwordx4 v[44:47], v[48:49], off offset:1056
	global_load_dwordx4 v[40:43], v[48:49], off offset:1072
	;; [unrolled: 1-line block ×3, first 2 shown]
	s_waitcnt vmcnt(8) lgkmcnt(0)
	v_mul_f32_e32 v193, v137, v97
	v_mul_f32_e32 v194, v136, v97
	;; [unrolled: 1-line block ×4, first 2 shown]
	s_waitcnt vmcnt(7)
	v_mul_f32_e32 v197, v129, v89
	v_mul_f32_e32 v198, v128, v89
	;; [unrolled: 1-line block ×4, first 2 shown]
	s_waitcnt vmcnt(6)
	v_mul_f32_e32 v201, v121, v77
	v_mul_f32_e32 v202, v120, v77
	;; [unrolled: 1-line block ×4, first 2 shown]
	v_fma_f32 v136, v136, v96, -v193
	v_fmac_f32_e32 v194, v137, v96
	v_fma_f32 v132, v132, v98, -v195
	v_fmac_f32_e32 v196, v133, v98
	;; [unrolled: 2-line block ×6, first 2 shown]
	s_waitcnt vmcnt(5)
	v_mul_f32_e32 v117, v139, v93
	v_mul_f32_e32 v121, v138, v93
	v_mul_f32_e32 v125, v135, v95
	v_mul_f32_e32 v129, v134, v95
	s_waitcnt vmcnt(4)
	v_mul_f32_e32 v133, v131, v85
	v_mul_f32_e32 v137, v130, v85
	v_mul_f32_e32 v193, v127, v87
	v_mul_f32_e32 v195, v126, v87
	;; [unrolled: 5-line block ×3, first 2 shown]
	v_add_f32_e32 v205, v136, v116
	v_add_f32_e32 v206, v194, v204
	v_sub_f32_e32 v116, v136, v116
	v_sub_f32_e32 v136, v194, v204
	v_add_f32_e32 v194, v132, v120
	v_add_f32_e32 v204, v196, v202
	v_sub_f32_e32 v120, v132, v120
	v_sub_f32_e32 v132, v196, v202
	;; [unrolled: 4-line block ×3, first 2 shown]
	v_fma_f32 v117, v138, v92, -v117
	v_fmac_f32_e32 v121, v139, v92
	v_fma_f32 v125, v134, v94, -v125
	v_fmac_f32_e32 v129, v135, v94
	;; [unrolled: 2-line block ×6, first 2 shown]
	s_waitcnt vmcnt(2)
	v_mul_f32_e32 v119, v103, v45
	v_mul_f32_e32 v123, v102, v45
	;; [unrolled: 1-line block ×4, first 2 shown]
	s_waitcnt vmcnt(1)
	v_mul_f32_e32 v133, v111, v41
	v_mul_f32_e32 v134, v110, v41
	s_waitcnt vmcnt(0)
	v_mul_f32_e32 v139, v115, v49
	v_mul_f32_e32 v193, v114, v49
	;; [unrolled: 1-line block ×6, first 2 shown]
	v_add_f32_e32 v200, v194, v205
	v_add_f32_e32 v201, v204, v206
	v_sub_f32_e32 v207, v194, v205
	v_sub_f32_e32 v208, v204, v206
	;; [unrolled: 1-line block ×4, first 2 shown]
	v_add_f32_e32 v209, v124, v120
	v_add_f32_e32 v210, v128, v132
	v_sub_f32_e32 v211, v124, v120
	v_sub_f32_e32 v212, v128, v132
	;; [unrolled: 1-line block ×3, first 2 shown]
	v_add_f32_e32 v213, v117, v118
	v_add_f32_e32 v214, v121, v203
	v_sub_f32_e32 v117, v117, v118
	v_sub_f32_e32 v118, v121, v203
	v_add_f32_e32 v121, v125, v122
	v_add_f32_e32 v203, v129, v199
	v_sub_f32_e32 v122, v125, v122
	v_sub_f32_e32 v125, v129, v199
	;; [unrolled: 4-line block ×3, first 2 shown]
	v_fma_f32 v102, v102, v44, -v119
	v_fmac_f32_e32 v123, v103, v44
	v_fma_f32 v103, v108, v46, -v127
	v_fmac_f32_e32 v131, v109, v46
	;; [unrolled: 2-line block ×5, first 2 shown]
	v_sub_f32_e32 v194, v196, v194
	v_sub_f32_e32 v204, v202, v204
	;; [unrolled: 1-line block ×5, first 2 shown]
	v_fma_f32 v109, v112, v42, -v135
	v_fmac_f32_e32 v138, v113, v42
	v_add_f32_e32 v112, v196, v200
	v_add_f32_e32 v113, v202, v201
	;; [unrolled: 1-line block ×4, first 2 shown]
	v_mul_f32_e32 v116, 0x3f4a47b2, v205
	v_mul_f32_e32 v119, 0x3f4a47b2, v206
	;; [unrolled: 1-line block ×5, first 2 shown]
	v_add_f32_e32 v171, v121, v213
	v_add_f32_e32 v172, v203, v214
	v_sub_f32_e32 v195, v121, v213
	v_sub_f32_e32 v196, v203, v214
	;; [unrolled: 1-line block ×5, first 2 shown]
	v_add_f32_e32 v202, v126, v122
	v_add_f32_e32 v203, v130, v125
	v_sub_f32_e32 v205, v126, v122
	v_add_f32_e32 v209, v102, v111
	v_add_f32_e32 v210, v123, v198
	v_sub_f32_e32 v123, v123, v198
	v_add_f32_e32 v198, v103, v110
	v_add_f32_e32 v211, v131, v193
	v_mul_f32_e32 v127, 0x3d64c772, v194
	v_mul_f32_e32 v133, 0x3d64c772, v204
	;; [unrolled: 1-line block ×3, first 2 shown]
	v_sub_f32_e32 v200, v214, v199
	v_sub_f32_e32 v206, v130, v125
	;; [unrolled: 1-line block ×9, first 2 shown]
	v_add_f32_e32 v193, v108, v109
	v_add_f32_e32 v212, v134, v138
	v_sub_f32_e32 v108, v109, v108
	v_sub_f32_e32 v109, v138, v134
	v_add_f32_e32 v102, v104, v112
	v_add_f32_e32 v103, v105, v113
	v_fmamk_f32 v134, v194, 0x3d64c772, v116
	v_fmamk_f32 v138, v204, 0x3d64c772, v119
	;; [unrolled: 1-line block ×4, first 2 shown]
	v_fma_f32 v120, 0x3f5ff5aa, v120, -v135
	v_fma_f32 v132, 0x3f5ff5aa, v132, -v136
	;; [unrolled: 1-line block ×3, first 2 shown]
	v_add_f32_e32 v129, v129, v171
	v_add_f32_e32 v135, v199, v172
	;; [unrolled: 1-line block ×4, first 2 shown]
	v_mul_f32_e32 v136, 0x3f4a47b2, v197
	v_mul_f32_e32 v139, 0x3d64c772, v121
	;; [unrolled: 1-line block ×3, first 2 shown]
	v_add_f32_e32 v202, v198, v209
	v_add_f32_e32 v203, v211, v210
	v_fma_f32 v127, 0x3f3bfb3b, v207, -v127
	v_fma_f32 v133, 0x3f3bfb3b, v208, -v133
	;; [unrolled: 1-line block ×5, first 2 shown]
	v_mul_f32_e32 v137, 0x3f4a47b2, v200
	v_mul_f32_e32 v171, 0x3d64c772, v201
	;; [unrolled: 1-line block ×5, first 2 shown]
	v_sub_f32_e32 v205, v198, v209
	v_sub_f32_e32 v206, v211, v210
	;; [unrolled: 1-line block ×6, first 2 shown]
	v_add_f32_e32 v210, v108, v110
	v_add_f32_e32 v211, v109, v131
	v_sub_f32_e32 v213, v108, v110
	v_sub_f32_e32 v214, v109, v131
	;; [unrolled: 1-line block ×4, first 2 shown]
	v_fmamk_f32 v112, v112, 0xbf955555, v102
	v_fmamk_f32 v113, v113, 0xbf955555, v103
	v_add_f32_e32 v104, v106, v129
	v_add_f32_e32 v105, v107, v135
	v_fmamk_f32 v121, v121, 0x3d64c772, v136
	v_fma_f32 v139, 0x3f3bfb3b, v195, -v139
	v_fma_f32 v136, 0xbf3bfb3b, v195, -v136
	v_fmamk_f32 v195, v126, 0x3eae86e6, v172
	v_fma_f32 v122, 0x3f5ff5aa, v122, -v172
	v_add_f32_e32 v172, v193, v202
	v_add_f32_e32 v193, v212, v203
	v_sub_f32_e32 v108, v111, v108
	v_sub_f32_e32 v109, v123, v109
	v_fmac_f32_e32 v194, 0x3ee1c552, v114
	v_fmac_f32_e32 v204, 0x3ee1c552, v115
	v_fmac_f32_e32 v120, 0x3ee1c552, v114
	v_fmac_f32_e32 v132, 0x3ee1c552, v115
	v_fmac_f32_e32 v124, 0x3ee1c552, v114
	v_fmac_f32_e32 v128, 0x3ee1c552, v115
	v_fmamk_f32 v201, v201, 0x3d64c772, v137
	v_fma_f32 v171, 0x3f3bfb3b, v196, -v171
	v_fma_f32 v137, 0xbf3bfb3b, v196, -v137
	v_fmamk_f32 v196, v130, 0x3eae86e6, v197
	v_fma_f32 v125, 0x3f5ff5aa, v125, -v197
	v_fma_f32 v126, 0xbeae86e6, v126, -v199
	;; [unrolled: 1-line block ×3, first 2 shown]
	v_add_f32_e32 v197, v210, v111
	v_mul_f32_e32 v106, 0x3f4a47b2, v207
	v_mul_f32_e32 v107, 0x3f4a47b2, v208
	;; [unrolled: 1-line block ×8, first 2 shown]
	v_add_f32_e32 v134, v134, v112
	v_add_f32_e32 v138, v138, v113
	;; [unrolled: 1-line block ×6, first 2 shown]
	v_fmamk_f32 v129, v129, 0xbf955555, v104
	v_fmamk_f32 v135, v135, 0xbf955555, v105
	v_add_f32_e32 v100, v100, v172
	v_add_f32_e32 v101, v101, v193
	;; [unrolled: 1-line block ×3, first 2 shown]
	v_fmac_f32_e32 v195, 0x3ee1c552, v117
	v_fmac_f32_e32 v196, 0x3ee1c552, v118
	;; [unrolled: 1-line block ×4, first 2 shown]
	v_fmamk_f32 v198, v198, 0x3d64c772, v106
	v_fmamk_f32 v203, v209, 0x3d64c772, v107
	v_fma_f32 v207, 0x3f3bfb3b, v205, -v111
	v_fma_f32 v208, 0x3f3bfb3b, v206, -v114
	;; [unrolled: 1-line block ×4, first 2 shown]
	v_fmamk_f32 v209, v108, 0x3eae86e6, v115
	v_fmamk_f32 v210, v109, 0x3eae86e6, v199
	v_fma_f32 v211, 0x3f5ff5aa, v110, -v115
	v_fma_f32 v131, 0x3f5ff5aa, v131, -v199
	;; [unrolled: 1-line block ×4, first 2 shown]
	v_add_f32_e32 v106, v204, v134
	v_sub_f32_e32 v107, v138, v194
	v_add_f32_e32 v108, v128, v116
	v_sub_f32_e32 v109, v119, v124
	v_sub_f32_e32 v110, v127, v132
	v_add_f32_e32 v111, v120, v133
	v_add_f32_e32 v112, v132, v127
	v_sub_f32_e32 v113, v133, v120
	v_sub_f32_e32 v114, v116, v128
	v_add_f32_e32 v115, v124, v119
	v_add_f32_e32 v124, v121, v129
	;; [unrolled: 1-line block ×5, first 2 shown]
	v_fmamk_f32 v128, v172, 0xbf955555, v100
	v_fmamk_f32 v129, v193, 0xbf955555, v101
	v_fmac_f32_e32 v122, 0x3ee1c552, v117
	v_fmac_f32_e32 v126, 0x3ee1c552, v117
	v_sub_f32_e32 v116, v134, v204
	v_add_f32_e32 v117, v194, v138
	v_add_f32_e32 v121, v137, v135
	v_fmac_f32_e32 v209, 0x3ee1c552, v197
	v_fmac_f32_e32 v210, 0x3ee1c552, v123
	;; [unrolled: 1-line block ×6, first 2 shown]
	ds_write_b64 v173, v[106:107] offset:1080
	ds_write_b64 v173, v[108:109] offset:2160
	;; [unrolled: 1-line block ×6, first 2 shown]
	ds_write2_b64 v173, v[102:103], v[104:105] offset1:63
	v_add_f32_e32 v102, v196, v124
	v_sub_f32_e32 v103, v127, v195
	v_add_f32_e32 v112, v198, v128
	v_add_f32_e32 v113, v203, v129
	;; [unrolled: 1-line block ×8, first 2 shown]
	v_sub_f32_e32 v115, v121, v126
	ds_write_b64 v173, v[102:103] offset:1584
	v_add_f32_e32 v102, v210, v112
	v_sub_f32_e32 v103, v113, v209
	v_add_f32_e32 v104, v200, v110
	v_sub_f32_e32 v105, v111, v199
	v_sub_f32_e32 v106, v108, v131
	v_add_f32_e32 v107, v211, v109
	v_add_f32_e32 v108, v131, v108
	v_sub_f32_e32 v109, v109, v211
	v_sub_f32_e32 v110, v110, v200
	v_add_f32_e32 v111, v199, v111
	v_sub_f32_e32 v112, v112, v210
	v_add_f32_e32 v113, v209, v113
	;; [unrolled: 2-line block ×3, first 2 shown]
	v_add_f32_e32 v118, v125, v118
	v_sub_f32_e32 v119, v119, v122
	v_sub_f32_e32 v120, v120, v130
	v_add_f32_e32 v121, v126, v121
	v_sub_f32_e32 v122, v124, v196
	v_add_f32_e32 v123, v195, v127
	ds_write_b64 v173, v[114:115] offset:2664
	ds_write_b64 v173, v[116:117] offset:3744
	;; [unrolled: 1-line block ×5, first 2 shown]
	s_and_saveexec_b32 s0, vcc_lo
	s_cbranch_execz .LBB0_5
; %bb.4:
	v_add_nc_u32_e32 v114, 0x200, v173
	v_add_nc_u32_e32 v115, 0xc00, v173
	;; [unrolled: 1-line block ×3, first 2 shown]
	ds_write2_b64 v114, v[100:101], v[102:103] offset0:62 offset1:197
	ds_write2_b64 v115, v[104:105], v[106:107] offset0:12 offset1:147
	;; [unrolled: 1-line block ×3, first 2 shown]
	ds_write_b64 v173, v[112:113] offset:7488
.LBB0_5:
	s_or_b32 exec_lo, exec_lo, s0
	v_lshlrev_b32_e32 v100, 3, v174
	s_waitcnt lgkmcnt(0)
	s_barrier
	buffer_gl0_inv
	v_add_co_u32 v120, s0, s12, v100
	v_add_co_ci_u32_e64 v121, null, s13, 0, s0
	v_add_co_u32 v100, s0, 0x1800, v120
	v_add_co_ci_u32_e64 v101, s0, 0, v121, s0
	v_add_co_u32 v114, s0, 0x1d88, v120
	v_add_co_ci_u32_e64 v115, s0, 0, v121, s0
	global_load_dwordx2 v[100:101], v[100:101], off offset:1416
	v_add_co_u32 v116, s0, 0x3800, v120
	v_add_co_ci_u32_e64 v117, s0, 0, v121, s0
	v_add_co_u32 v118, s0, 0x2000, v120
	s_clause 0x1
	global_load_dwordx2 v[137:138], v[114:115], off offset:504
	global_load_dwordx2 v[171:172], v[116:117], off offset:280
	v_add_co_ci_u32_e64 v119, s0, 0, v121, s0
	v_add_co_u32 v116, s0, 0x3000, v120
	v_add_co_ci_u32_e64 v117, s0, 0, v121, s0
	v_add_co_u32 v120, s0, 0x2800, v120
	v_add_co_ci_u32_e64 v121, s0, 0, v121, s0
	s_clause 0xb
	global_load_dwordx2 v[201:202], v[118:119], off offset:1888
	global_load_dwordx2 v[203:204], v[116:117], off offset:312
	;; [unrolled: 1-line block ×12, first 2 shown]
	ds_read2_b64 v[117:120], v173 offset1:63
	ds_read_b64 v[225:226], v173 offset:7056
	v_add_nc_u32_e32 v116, 0x1000, v173
	s_waitcnt vmcnt(14) lgkmcnt(1)
	v_mul_f32_e32 v114, v118, v101
	v_mul_f32_e32 v115, v117, v101
	v_fma_f32 v114, v117, v100, -v114
	v_fmac_f32_e32 v115, v118, v100
	v_add_nc_u32_e32 v100, 0x400, v173
	v_add_nc_u32_e32 v117, 0x800, v173
	s_waitcnt vmcnt(13)
	v_mul_f32_e32 v101, v120, v138
	v_mul_f32_e32 v139, v119, v138
	ds_write_b64 v173, v[114:115]
	v_add_nc_u32_e32 v114, 0x1400, v173
	v_add_nc_u32_e32 v115, 0xc00, v173
	ds_read2_b64 v[121:124], v100 offset0:124 offset1:187
	ds_read2_b64 v[125:128], v116 offset0:118 offset1:181
	;; [unrolled: 1-line block ×4, first 2 shown]
	s_waitcnt vmcnt(12) lgkmcnt(5)
	v_mul_f32_e32 v227, v226, v172
	ds_read2_b64 v[193:196], v114 offset0:116 offset1:179
	ds_read2_b64 v[197:200], v115 offset0:120 offset1:183
	v_mul_f32_e32 v228, v225, v172
	v_fma_f32 v138, v119, v137, -v101
	v_fmac_f32_e32 v139, v120, v137
	v_fma_f32 v227, v225, v171, -v227
	v_add_nc_u32_e32 v118, 0x1800, v173
	v_fmac_f32_e32 v228, v226, v171
	s_waitcnt vmcnt(11) lgkmcnt(5)
	v_mul_f32_e32 v101, v124, v202
	v_mul_f32_e32 v120, v123, v202
	s_waitcnt vmcnt(9) lgkmcnt(3)
	v_mul_f32_e32 v225, v130, v206
	v_mul_f32_e32 v202, v129, v206
	;; [unrolled: 3-line block ×3, first 2 shown]
	v_mul_f32_e32 v171, v126, v204
	v_mul_f32_e32 v172, v125, v204
	;; [unrolled: 1-line block ×4, first 2 shown]
	s_waitcnt vmcnt(5) lgkmcnt(1)
	v_mul_f32_e32 v231, v194, v214
	v_mul_f32_e32 v210, v193, v214
	;; [unrolled: 1-line block ×4, first 2 shown]
	s_waitcnt vmcnt(4)
	v_mul_f32_e32 v212, v135, v216
	s_waitcnt vmcnt(3) lgkmcnt(0)
	v_mul_f32_e32 v233, v198, v218
	v_mul_f32_e32 v137, v197, v218
	;; [unrolled: 1-line block ×3, first 2 shown]
	s_waitcnt vmcnt(2)
	v_mul_f32_e32 v234, v196, v220
	v_mul_f32_e32 v214, v195, v220
	s_waitcnt vmcnt(1)
	v_mul_f32_e32 v220, v122, v222
	v_mul_f32_e32 v216, v121, v222
	;; [unrolled: 3-line block ×3, first 2 shown]
	v_fma_f32 v119, v123, v201, -v101
	v_fmac_f32_e32 v120, v124, v201
	v_fma_f32 v201, v129, v205, -v225
	v_fmac_f32_e32 v202, v130, v205
	;; [unrolled: 2-line block ×7, first 2 shown]
	v_fmac_f32_e32 v212, v136, v215
	v_fma_f32 v136, v197, v217, -v233
	v_fmac_f32_e32 v137, v198, v217
	v_fma_f32 v211, v135, v215, -v232
	v_fma_f32 v215, v121, v221, -v220
	v_fmac_f32_e32 v216, v122, v221
	v_fma_f32 v213, v195, v219, -v234
	v_fmac_f32_e32 v214, v196, v219
	;; [unrolled: 2-line block ×3, first 2 shown]
	ds_write2_b64 v117, v[119:120], v[201:202] offset0:59 offset1:122
	ds_write2_b64 v173, v[138:139], v[205:206] offset0:63 offset1:126
	;; [unrolled: 1-line block ×7, first 2 shown]
	s_waitcnt lgkmcnt(0)
	s_barrier
	buffer_gl0_inv
	ds_read2_b64 v[119:122], v173 offset1:63
	ds_read2_b64 v[123:126], v100 offset0:124 offset1:187
	ds_read2_b64 v[127:130], v116 offset0:118 offset1:181
	;; [unrolled: 1-line block ×6, first 2 shown]
	ds_read_b64 v[171:172], v173 offset:7056
	s_waitcnt lgkmcnt(0)
	s_barrier
	buffer_gl0_inv
	v_add_f32_e32 v101, v119, v125
	v_add_f32_e32 v139, v125, v127
	;; [unrolled: 1-line block ×4, first 2 shown]
	v_sub_f32_e32 v207, v132, v130
	v_add_f32_e32 v208, v122, v132
	v_add_f32_e32 v132, v132, v130
	;; [unrolled: 1-line block ×3, first 2 shown]
	v_sub_f32_e32 v209, v131, v129
	v_add_f32_e32 v131, v135, v133
	v_add_f32_e32 v210, v133, v193
	v_sub_f32_e32 v211, v134, v194
	v_add_f32_e32 v212, v136, v134
	v_add_f32_e32 v134, v134, v194
	v_add_f32_e32 v214, v197, v195
	v_sub_f32_e32 v215, v198, v196
	v_add_f32_e32 v216, v138, v198
	v_add_f32_e32 v198, v198, v196
	v_add_f32_e32 v218, v199, v171
	v_sub_f32_e32 v219, v200, v172
	v_add_f32_e32 v220, v124, v200
	v_add_f32_e32 v200, v200, v172
	v_sub_f32_e32 v201, v126, v128
	v_add_f32_e32 v202, v120, v126
	v_sub_f32_e32 v204, v125, v127
	v_sub_f32_e32 v213, v133, v193
	v_add_f32_e32 v133, v137, v197
	v_sub_f32_e32 v217, v197, v195
	v_add_f32_e32 v197, v123, v199
	v_fma_f32 v119, -0.5, v139, v119
	v_fma_f32 v120, -0.5, v203, v120
	;; [unrolled: 1-line block ×3, first 2 shown]
	v_fmac_f32_e32 v122, -0.5, v132
	v_sub_f32_e32 v221, v199, v171
	v_add_f32_e32 v125, v101, v127
	v_add_f32_e32 v127, v205, v129
	;; [unrolled: 1-line block ×3, first 2 shown]
	v_fma_f32 v131, -0.5, v210, v135
	v_fma_f32 v132, -0.5, v134, v136
	;; [unrolled: 1-line block ×3, first 2 shown]
	v_fmac_f32_e32 v138, -0.5, v198
	v_fma_f32 v123, -0.5, v218, v123
	v_fmac_f32_e32 v124, -0.5, v200
	v_add_f32_e32 v126, v202, v128
	v_add_f32_e32 v135, v197, v171
	;; [unrolled: 1-line block ×3, first 2 shown]
	v_fmamk_f32 v171, v201, 0xbf5db3d7, v119
	v_fmamk_f32 v172, v204, 0x3f5db3d7, v120
	v_fmac_f32_e32 v119, 0x3f5db3d7, v201
	v_fmac_f32_e32 v120, 0xbf5db3d7, v204
	v_add_f32_e32 v128, v208, v130
	v_add_f32_e32 v130, v212, v194
	v_fmamk_f32 v193, v207, 0xbf5db3d7, v121
	v_fmamk_f32 v194, v209, 0x3f5db3d7, v122
	v_fmac_f32_e32 v121, 0x3f5db3d7, v207
	v_fmac_f32_e32 v122, 0xbf5db3d7, v209
	v_add_f32_e32 v133, v133, v195
	v_add_f32_e32 v134, v216, v196
	v_fmamk_f32 v195, v211, 0xbf5db3d7, v131
	v_fmac_f32_e32 v131, 0x3f5db3d7, v211
	v_fmamk_f32 v196, v213, 0x3f5db3d7, v132
	v_fmac_f32_e32 v132, 0xbf5db3d7, v213
	;; [unrolled: 2-line block ×6, first 2 shown]
	ds_write2_b64 v175, v[125:126], v[171:172] offset1:1
	ds_write_b64 v175, v[119:120] offset:16
	ds_write2_b64 v179, v[127:128], v[193:194] offset1:1
	ds_write_b64 v179, v[121:122] offset:16
	;; [unrolled: 2-line block ×5, first 2 shown]
	s_waitcnt lgkmcnt(0)
	s_barrier
	buffer_gl0_inv
	ds_read2_b64 v[119:122], v100 offset0:124 offset1:187
	ds_read2_b64 v[123:126], v116 offset0:118 offset1:181
	;; [unrolled: 1-line block ×5, first 2 shown]
	ds_read2_b64 v[175:178], v173 offset1:63
	ds_read2_b64 v[193:196], v173 offset0:126 offset1:189
	ds_read_b64 v[171:172], v173 offset:7056
	s_waitcnt lgkmcnt(0)
	s_barrier
	buffer_gl0_inv
	v_mul_f32_e32 v101, v17, v122
	v_mul_f32_e32 v17, v17, v121
	;; [unrolled: 1-line block ×20, first 2 shown]
	v_fmac_f32_e32 v101, v16, v121
	v_fma_f32 v16, v16, v122, -v17
	v_fmac_f32_e32 v139, v18, v123
	v_fma_f32 v17, v18, v124, -v19
	;; [unrolled: 2-line block ×10, first 2 shown]
	v_add_f32_e32 v1, v175, v101
	v_add_f32_e32 v2, v101, v139
	v_add_f32_e32 v3, v176, v16
	v_add_f32_e32 v5, v16, v17
	v_add_f32_e32 v7, v179, v197
	v_sub_f32_e32 v18, v8, v9
	v_add_f32_e32 v14, v178, v8
	v_add_f32_e32 v8, v8, v9
	;; [unrolled: 1-line block ×3, first 2 shown]
	v_sub_f32_e32 v122, v10, v11
	v_add_f32_e32 v123, v194, v10
	v_add_f32_e32 v10, v10, v11
	;; [unrolled: 1-line block ×6, first 2 shown]
	v_sub_f32_e32 v15, v16, v17
	v_sub_f32_e32 v16, v101, v139
	;; [unrolled: 1-line block ×3, first 2 shown]
	v_add_f32_e32 v134, v120, v0
	v_add_f32_e32 v0, v1, v139
	v_fma_f32 v2, -0.5, v2, v175
	v_add_f32_e32 v1, v3, v17
	v_fma_f32 v3, -0.5, v5, v176
	v_add_f32_e32 v6, v177, v179
	v_sub_f32_e32 v19, v179, v197
	v_fma_f32 v177, -0.5, v7, v177
	v_fmac_f32_e32 v178, -0.5, v8
	v_add_f32_e32 v101, v193, v198
	v_sub_f32_e32 v124, v198, v199
	v_add_f32_e32 v125, v195, v200
	v_sub_f32_e32 v127, v4, v12
	;; [unrolled: 2-line block ×4, first 2 shown]
	v_add_f32_e32 v5, v14, v9
	v_fma_f32 v8, -0.5, v121, v193
	v_fma_f32 v9, -0.5, v10, v194
	;; [unrolled: 1-line block ×3, first 2 shown]
	v_fmac_f32_e32 v196, -0.5, v129
	v_fma_f32 v119, -0.5, v132, v119
	v_fmac_f32_e32 v120, -0.5, v135
	v_fmamk_f32 v14, v15, 0xbf5db3d7, v2
	v_fmac_f32_e32 v2, 0x3f5db3d7, v15
	v_fmamk_f32 v15, v16, 0x3f5db3d7, v3
	v_fmac_f32_e32 v3, 0xbf5db3d7, v16
	v_add_f32_e32 v4, v6, v197
	v_fmamk_f32 v16, v18, 0xbf5db3d7, v177
	v_fmamk_f32 v17, v19, 0x3f5db3d7, v178
	v_fmac_f32_e32 v177, 0x3f5db3d7, v18
	v_fmac_f32_e32 v178, 0xbf5db3d7, v19
	v_add_f32_e32 v6, v101, v199
	v_add_f32_e32 v7, v123, v11
	;; [unrolled: 1-line block ×6, first 2 shown]
	v_fmamk_f32 v18, v122, 0xbf5db3d7, v8
	v_fmac_f32_e32 v8, 0x3f5db3d7, v122
	v_fmamk_f32 v19, v124, 0x3f5db3d7, v9
	v_fmac_f32_e32 v9, 0xbf5db3d7, v124
	v_fmamk_f32 v121, v127, 0xbf5db3d7, v195
	v_fmamk_f32 v122, v130, 0x3f5db3d7, v196
	;; [unrolled: 1-line block ×3, first 2 shown]
	v_fmac_f32_e32 v119, 0x3f5db3d7, v133
	v_fmamk_f32 v124, v136, 0x3f5db3d7, v120
	v_fmac_f32_e32 v120, 0xbf5db3d7, v136
	v_fmac_f32_e32 v195, 0x3f5db3d7, v127
	;; [unrolled: 1-line block ×3, first 2 shown]
	ds_write2_b64 v183, v[0:1], v[14:15] offset1:3
	ds_write_b64 v183, v[2:3] offset:48
	ds_write2_b64 v184, v[4:5], v[16:17] offset1:3
	ds_write_b64 v184, v[177:178] offset:48
	;; [unrolled: 2-line block ×5, first 2 shown]
	s_waitcnt lgkmcnt(0)
	s_barrier
	buffer_gl0_inv
	ds_read2_b64 v[0:3], v100 offset0:124 offset1:187
	ds_read2_b64 v[4:7], v116 offset0:118 offset1:181
	;; [unrolled: 1-line block ×5, first 2 shown]
	ds_read2_b64 v[119:122], v173 offset1:63
	ds_read2_b64 v[123:126], v173 offset0:126 offset1:189
	ds_read_b64 v[127:128], v173 offset:7056
	s_waitcnt lgkmcnt(0)
	s_barrier
	buffer_gl0_inv
	v_mul_f32_e32 v101, v37, v3
	v_mul_f32_e32 v37, v37, v2
	;; [unrolled: 1-line block ×20, first 2 shown]
	v_fmac_f32_e32 v101, v36, v2
	v_fma_f32 v2, v36, v3, -v37
	v_fmac_f32_e32 v129, v38, v4
	v_fma_f32 v3, v38, v5, -v39
	;; [unrolled: 2-line block ×10, first 2 shown]
	v_add_f32_e32 v11, v101, v129
	v_add_f32_e32 v14, v2, v3
	;; [unrolled: 1-line block ×5, first 2 shown]
	v_sub_f32_e32 v18, v101, v129
	v_add_f32_e32 v25, v132, v133
	v_add_f32_e32 v28, v5, v9
	;; [unrolled: 1-line block ×6, first 2 shown]
	v_sub_f32_e32 v17, v2, v3
	v_add_f32_e32 v12, v120, v2
	v_add_f32_e32 v16, v121, v130
	v_sub_f32_e32 v20, v4, v7
	v_add_f32_e32 v21, v122, v4
	v_sub_f32_e32 v26, v5, v9
	v_add_f32_e32 v27, v124, v5
	v_fma_f32 v4, -0.5, v11, v119
	v_fma_f32 v5, -0.5, v14, v120
	v_sub_f32_e32 v23, v130, v131
	v_fma_f32 v121, -0.5, v19, v121
	v_fmac_f32_e32 v122, -0.5, v22
	v_add_f32_e32 v24, v123, v132
	v_sub_f32_e32 v29, v132, v133
	v_add_f32_e32 v30, v125, v134
	v_sub_f32_e32 v32, v6, v13
	;; [unrolled: 2-line block ×5, first 2 shown]
	v_add_f32_e32 v2, v10, v129
	v_fma_f32 v10, -0.5, v25, v123
	v_fma_f32 v11, -0.5, v28, v124
	;; [unrolled: 1-line block ×3, first 2 shown]
	v_fmac_f32_e32 v126, -0.5, v34
	v_fma_f32 v0, -0.5, v37, v0
	v_fmac_f32_e32 v1, -0.5, v101
	v_add_f32_e32 v3, v12, v3
	v_add_f32_e32 v6, v16, v131
	v_fmamk_f32 v16, v17, 0xbf5db3d7, v4
	v_fmac_f32_e32 v4, 0x3f5db3d7, v17
	v_fmamk_f32 v17, v18, 0x3f5db3d7, v5
	v_fmac_f32_e32 v5, 0xbf5db3d7, v18
	v_add_f32_e32 v7, v21, v7
	v_fmamk_f32 v18, v20, 0xbf5db3d7, v121
	v_fmamk_f32 v19, v23, 0x3f5db3d7, v122
	v_fmac_f32_e32 v121, 0x3f5db3d7, v20
	v_fmac_f32_e32 v122, 0xbf5db3d7, v23
	v_add_f32_e32 v8, v24, v133
	v_add_f32_e32 v9, v27, v9
	v_add_f32_e32 v12, v30, v135
	v_add_f32_e32 v13, v33, v13
	v_add_f32_e32 v14, v36, v137
	v_add_f32_e32 v15, v39, v15
	v_fmamk_f32 v20, v26, 0xbf5db3d7, v10
	v_fmac_f32_e32 v10, 0x3f5db3d7, v26
	v_fmamk_f32 v21, v29, 0x3f5db3d7, v11
	v_fmac_f32_e32 v11, 0xbf5db3d7, v29
	v_fmamk_f32 v22, v32, 0xbf5db3d7, v125
	v_fmamk_f32 v23, v35, 0x3f5db3d7, v126
	;; [unrolled: 1-line block ×3, first 2 shown]
	v_fmac_f32_e32 v0, 0x3f5db3d7, v38
	v_fmamk_f32 v25, v127, 0x3f5db3d7, v1
	v_fmac_f32_e32 v1, 0xbf5db3d7, v127
	v_fmac_f32_e32 v125, 0x3f5db3d7, v32
	;; [unrolled: 1-line block ×3, first 2 shown]
	ds_write2_b64 v191, v[2:3], v[16:17] offset1:9
	ds_write_b64 v191, v[4:5] offset:144
	ds_write2_b64 v192, v[6:7], v[18:19] offset1:9
	ds_write_b64 v192, v[121:122] offset:144
	;; [unrolled: 2-line block ×5, first 2 shown]
	s_waitcnt lgkmcnt(0)
	s_barrier
	buffer_gl0_inv
	ds_read2_b64 v[0:3], v173 offset0:126 offset1:189
	ds_read2_b64 v[4:7], v117 offset0:122 offset1:185
	;; [unrolled: 1-line block ×6, first 2 shown]
	ds_read2_b64 v[24:27], v173 offset1:63
	ds_read_b64 v[28:29], v173 offset:7056
	s_waitcnt lgkmcnt(0)
	s_barrier
	buffer_gl0_inv
	v_mul_f32_e32 v30, v73, v3
	v_mul_f32_e32 v31, v73, v2
	v_mul_f32_e32 v32, v75, v5
	v_mul_f32_e32 v33, v75, v4
	v_mul_f32_e32 v34, v69, v11
	v_mul_f32_e32 v35, v69, v10
	v_mul_f32_e32 v36, v71, v13
	v_mul_f32_e32 v37, v71, v12
	v_mul_f32_e32 v69, v57, v21
	v_mul_f32_e32 v57, v57, v20
	v_mul_f32_e32 v71, v59, v15
	v_fmac_f32_e32 v30, v72, v2
	v_fma_f32 v31, v72, v3, -v31
	v_fmac_f32_e32 v32, v74, v4
	v_mul_f32_e32 v2, v59, v14
	v_mul_f32_e32 v3, v61, v18
	;; [unrolled: 1-line block ×3, first 2 shown]
	v_fmac_f32_e32 v34, v68, v10
	v_fmac_f32_e32 v69, v56, v20
	v_fma_f32 v20, v56, v21, -v57
	v_fmac_f32_e32 v71, v58, v14
	v_mul_f32_e32 v21, v61, v19
	v_fma_f32 v57, v58, v15, -v2
	v_fma_f32 v58, v60, v19, -v3
	;; [unrolled: 1-line block ×3, first 2 shown]
	v_mul_f32_e32 v3, v53, v22
	v_add_f32_e32 v4, v24, v30
	v_mul_f32_e32 v38, v65, v17
	v_mul_f32_e32 v39, v65, v16
	;; [unrolled: 1-line block ×3, first 2 shown]
	v_fmac_f32_e32 v36, v70, v12
	v_fma_f32 v12, v70, v13, -v37
	v_mul_f32_e32 v56, v63, v9
	v_fmac_f32_e32 v21, v60, v18
	v_add_f32_e32 v2, v32, v34
	v_mul_f32_e32 v60, v53, v23
	v_fma_f32 v23, v52, v23, -v3
	v_add_f32_e32 v3, v4, v32
	v_mul_f32_e32 v67, v67, v6
	v_fma_f32 v33, v74, v5, -v33
	v_fma_f32 v35, v68, v11, -v35
	v_fmac_f32_e32 v65, v66, v6
	v_fmac_f32_e32 v56, v62, v8
	v_fma_f32 v2, -0.5, v2, v24
	v_sub_f32_e32 v5, v31, v12
	v_sub_f32_e32 v6, v30, v32
	;; [unrolled: 1-line block ×3, first 2 shown]
	v_add_f32_e32 v9, v30, v36
	v_add_f32_e32 v3, v3, v34
	v_fma_f32 v37, v64, v17, -v39
	v_fma_f32 v39, v66, v7, -v67
	v_mul_f32_e32 v53, v55, v29
	v_fmamk_f32 v4, v5, 0xbf737871, v2
	v_sub_f32_e32 v7, v33, v35
	v_mul_f32_e32 v10, v55, v28
	v_add_f32_e32 v11, v6, v8
	v_fma_f32 v6, -0.5, v9, v24
	v_add_f32_e32 v8, v3, v36
	v_fmac_f32_e32 v2, 0x3f737871, v5
	v_sub_f32_e32 v3, v32, v30
	v_sub_f32_e32 v9, v34, v36
	v_add_f32_e32 v13, v25, v31
	v_add_f32_e32 v14, v33, v35
	v_fmac_f32_e32 v53, v54, v28
	v_fmac_f32_e32 v4, 0xbf167918, v7
	v_fma_f32 v28, v54, v29, -v10
	v_fmamk_f32 v10, v7, 0x3f737871, v6
	v_fmac_f32_e32 v2, 0x3f167918, v7
	v_add_f32_e32 v9, v3, v9
	v_fmac_f32_e32 v6, 0xbf737871, v7
	v_add_f32_e32 v7, v13, v33
	v_fma_f32 v3, -0.5, v14, v25
	v_sub_f32_e32 v13, v30, v36
	v_fmac_f32_e32 v38, v64, v16
	v_fmac_f32_e32 v4, 0x3e9e377a, v11
	;; [unrolled: 1-line block ×5, first 2 shown]
	v_add_f32_e32 v11, v7, v35
	v_fmamk_f32 v5, v13, 0x3f737871, v3
	v_add_f32_e32 v7, v31, v12
	v_sub_f32_e32 v14, v32, v34
	v_sub_f32_e32 v15, v31, v33
	v_sub_f32_e32 v16, v12, v35
	v_fmac_f32_e32 v3, 0xbf737871, v13
	v_fmac_f32_e32 v10, 0x3e9e377a, v9
	;; [unrolled: 1-line block ×3, first 2 shown]
	v_fma_f32 v7, -0.5, v7, v25
	v_add_f32_e32 v9, v11, v12
	v_fmac_f32_e32 v5, 0x3f167918, v14
	v_add_f32_e32 v15, v15, v16
	v_sub_f32_e32 v16, v33, v31
	v_sub_f32_e32 v12, v35, v12
	v_add_f32_e32 v17, v65, v69
	v_fmac_f32_e32 v3, 0xbf167918, v14
	v_add_f32_e32 v18, v26, v38
	v_fmamk_f32 v11, v14, 0xbf737871, v7
	v_fmac_f32_e32 v5, 0x3e9e377a, v15
	v_add_f32_e32 v16, v16, v12
	v_fma_f32 v12, -0.5, v17, v26
	v_sub_f32_e32 v17, v37, v57
	v_fmac_f32_e32 v3, 0x3e9e377a, v15
	v_fmac_f32_e32 v7, 0x3f737871, v14
	v_add_f32_e32 v15, v18, v65
	v_add_f32_e32 v24, v38, v71
	v_fmac_f32_e32 v60, v52, v22
	v_fmac_f32_e32 v11, 0x3f167918, v13
	v_fmamk_f32 v14, v17, 0xbf737871, v12
	v_sub_f32_e32 v19, v39, v20
	v_sub_f32_e32 v18, v38, v65
	;; [unrolled: 1-line block ×3, first 2 shown]
	v_fmac_f32_e32 v7, 0xbf167918, v13
	v_add_f32_e32 v13, v15, v69
	v_fma_f32 v26, -0.5, v24, v26
	v_fmac_f32_e32 v12, 0x3f737871, v17
	v_add_f32_e32 v24, v27, v37
	v_fmac_f32_e32 v11, 0x3e9e377a, v16
	v_fmac_f32_e32 v14, 0xbf167918, v19
	v_add_f32_e32 v15, v18, v22
	v_fmac_f32_e32 v7, 0x3e9e377a, v16
	v_add_f32_e32 v16, v13, v71
	v_fmamk_f32 v18, v19, 0x3f737871, v26
	v_sub_f32_e32 v13, v65, v38
	v_sub_f32_e32 v22, v69, v71
	v_fmac_f32_e32 v12, 0x3f167918, v19
	v_add_f32_e32 v25, v39, v20
	v_fmac_f32_e32 v26, 0xbf737871, v19
	v_add_f32_e32 v19, v24, v39
	;; [unrolled: 2-line block ×3, first 2 shown]
	v_fma_f32 v13, -0.5, v25, v27
	v_sub_f32_e32 v24, v38, v71
	v_fmac_f32_e32 v26, 0x3f167918, v17
	v_add_f32_e32 v17, v19, v20
	v_add_f32_e32 v19, v37, v57
	v_sub_f32_e32 v29, v37, v39
	v_sub_f32_e32 v30, v57, v20
	v_fmac_f32_e32 v14, 0x3e9e377a, v15
	v_fmac_f32_e32 v12, 0x3e9e377a, v15
	;; [unrolled: 1-line block ×3, first 2 shown]
	v_fmamk_f32 v15, v24, 0x3f737871, v13
	v_sub_f32_e32 v25, v65, v69
	v_fmac_f32_e32 v26, 0x3e9e377a, v22
	v_fmac_f32_e32 v27, -0.5, v19
	v_add_f32_e32 v22, v29, v30
	v_fmac_f32_e32 v13, 0xbf737871, v24
	v_sub_f32_e32 v29, v39, v37
	v_sub_f32_e32 v20, v20, v57
	v_add_f32_e32 v30, v56, v60
	v_fmac_f32_e32 v15, 0x3f167918, v25
	v_fmamk_f32 v19, v25, 0xbf737871, v27
	v_fmac_f32_e32 v13, 0xbf167918, v25
	v_add_f32_e32 v29, v29, v20
	v_fmac_f32_e32 v27, 0x3f737871, v25
	v_add_f32_e32 v20, v0, v21
	v_fma_f32 v100, -0.5, v30, v0
	v_sub_f32_e32 v25, v58, v28
	v_fmac_f32_e32 v15, 0x3e9e377a, v22
	v_fmac_f32_e32 v19, 0x3f167918, v24
	;; [unrolled: 1-line block ×4, first 2 shown]
	v_add_f32_e32 v22, v20, v56
	v_fmamk_f32 v20, v25, 0xbf737871, v100
	v_sub_f32_e32 v30, v59, v23
	v_sub_f32_e32 v24, v21, v56
	;; [unrolled: 1-line block ×3, first 2 shown]
	v_fmac_f32_e32 v100, 0x3f737871, v25
	v_add_f32_e32 v32, v21, v53
	v_fmac_f32_e32 v20, 0xbf167918, v30
	v_fmac_f32_e32 v19, 0x3e9e377a, v29
	v_add_f32_e32 v24, v24, v31
	v_fmac_f32_e32 v100, 0x3f167918, v30
	v_fma_f32 v0, -0.5, v32, v0
	v_fmac_f32_e32 v27, 0x3e9e377a, v29
	v_add_f32_e32 v29, v59, v23
	v_fmac_f32_e32 v20, 0x3e9e377a, v24
	v_fmac_f32_e32 v100, 0x3e9e377a, v24
	v_fmamk_f32 v24, v30, 0x3f737871, v0
	v_fmac_f32_e32 v0, 0xbf737871, v30
	v_add_f32_e32 v30, v1, v58
	v_sub_f32_e32 v31, v56, v21
	v_sub_f32_e32 v32, v60, v53
	v_fmac_f32_e32 v24, 0xbf167918, v25
	v_fmac_f32_e32 v0, 0x3f167918, v25
	v_add_f32_e32 v25, v30, v59
	v_add_f32_e32 v30, v58, v28
	v_fma_f32 v101, -0.5, v29, v1
	v_sub_f32_e32 v29, v21, v53
	v_add_f32_e32 v31, v31, v32
	v_sub_f32_e32 v32, v56, v60
	v_fmac_f32_e32 v1, -0.5, v30
	v_sub_f32_e32 v30, v58, v59
	v_fmamk_f32 v21, v29, 0x3f737871, v101
	v_fmac_f32_e32 v24, 0x3e9e377a, v31
	v_fmac_f32_e32 v0, 0x3e9e377a, v31
	v_add_f32_e32 v31, v25, v23
	v_sub_f32_e32 v33, v28, v23
	v_fmac_f32_e32 v101, 0xbf737871, v29
	v_fmamk_f32 v25, v32, 0xbf737871, v1
	v_sub_f32_e32 v34, v59, v58
	v_sub_f32_e32 v23, v23, v28
	v_fmac_f32_e32 v1, 0x3f737871, v32
	v_add_f32_e32 v22, v22, v60
	v_fmac_f32_e32 v21, 0x3f167918, v32
	v_add_f32_e32 v30, v30, v33
	v_fmac_f32_e32 v101, 0xbf167918, v32
	v_fmac_f32_e32 v25, 0x3f167918, v29
	v_add_f32_e32 v32, v34, v23
	v_fmac_f32_e32 v1, 0xbf167918, v29
	v_add_f32_e32 v17, v17, v57
	v_add_f32_e32 v22, v22, v53
	;; [unrolled: 1-line block ×3, first 2 shown]
	v_fmac_f32_e32 v21, 0x3e9e377a, v30
	v_fmac_f32_e32 v25, 0x3e9e377a, v32
	;; [unrolled: 1-line block ×4, first 2 shown]
	ds_write2_b64 v187, v[8:9], v[4:5] offset1:27
	ds_write2_b64 v187, v[10:11], v[6:7] offset0:54 offset1:81
	ds_write_b64 v187, v[2:3] offset:864
	ds_write2_b64 v186, v[16:17], v[14:15] offset1:27
	ds_write2_b64 v186, v[18:19], v[26:27] offset0:54 offset1:81
	ds_write_b64 v186, v[12:13] offset:864
	;; [unrolled: 3-line block ×3, first 2 shown]
	s_waitcnt lgkmcnt(0)
	s_barrier
	buffer_gl0_inv
	ds_read2_b64 v[0:3], v173 offset1:63
	ds_read2_b64 v[24:27], v173 offset0:135 offset1:198
	ds_read2_b64 v[16:19], v117 offset0:14 offset1:77
	;; [unrolled: 1-line block ×6, first 2 shown]
	s_and_saveexec_b32 s0, vcc_lo
	s_cbranch_execz .LBB0_7
; %bb.6:
	v_add_nc_u32_e32 v28, 0x200, v173
	ds_read2_b64 v[104:107], v115 offset0:12 offset1:147
	ds_read2_b64 v[108:111], v114 offset0:26 offset1:161
	;; [unrolled: 1-line block ×3, first 2 shown]
	ds_read_b64 v[112:113], v173 offset:7488
.LBB0_7:
	s_or_b32 exec_lo, exec_lo, s0
	s_waitcnt lgkmcnt(5)
	v_mul_f32_e32 v28, v97, v25
	v_mul_f32_e32 v29, v97, v24
	s_waitcnt lgkmcnt(4)
	v_mul_f32_e32 v30, v99, v17
	v_mul_f32_e32 v31, v99, v16
	s_waitcnt lgkmcnt(1)
	v_mul_f32_e32 v32, v77, v9
	v_fmac_f32_e32 v28, v96, v24
	v_fma_f32 v24, v96, v25, -v29
	v_fmac_f32_e32 v30, v98, v16
	v_fma_f32 v16, v98, v17, -v31
	v_mul_f32_e32 v17, v89, v21
	v_mul_f32_e32 v25, v89, v20
	;; [unrolled: 1-line block ×4, first 2 shown]
	v_fmac_f32_e32 v32, v76, v8
	v_fmac_f32_e32 v17, v88, v20
	v_fma_f32 v20, v88, v21, -v25
	v_fmac_f32_e32 v29, v90, v4
	v_fma_f32 v4, v90, v5, -v31
	v_mul_f32_e32 v5, v77, v8
	s_waitcnt lgkmcnt(0)
	v_mul_f32_e32 v8, v79, v13
	v_mul_f32_e32 v21, v79, v12
	;; [unrolled: 1-line block ×4, first 2 shown]
	v_fma_f32 v5, v76, v9, -v5
	v_fmac_f32_e32 v8, v78, v12
	v_fma_f32 v9, v78, v13, -v21
	v_fmac_f32_e32 v25, v92, v26
	v_fma_f32 v21, v92, v27, -v31
	v_mul_f32_e32 v26, v95, v19
	v_mul_f32_e32 v12, v95, v18
	;; [unrolled: 1-line block ×5, first 2 shown]
	v_fmac_f32_e32 v26, v94, v18
	v_fma_f32 v18, v94, v19, -v12
	v_fmac_f32_e32 v27, v84, v22
	v_fmac_f32_e32 v31, v86, v6
	v_mul_f32_e32 v6, v87, v6
	v_mul_f32_e32 v22, v81, v11
	;; [unrolled: 1-line block ×3, first 2 shown]
	v_fma_f32 v19, v84, v23, -v13
	v_mul_f32_e32 v23, v83, v15
	v_mul_f32_e32 v13, v83, v14
	v_fma_f32 v33, v86, v7, -v6
	v_fmac_f32_e32 v22, v80, v10
	v_fma_f32 v34, v80, v11, -v12
	v_add_f32_e32 v6, v28, v8
	v_add_f32_e32 v7, v24, v9
	;; [unrolled: 1-line block ×4, first 2 shown]
	v_fmac_f32_e32 v23, v82, v14
	v_fma_f32 v35, v82, v15, -v13
	v_sub_f32_e32 v8, v28, v8
	v_sub_f32_e32 v9, v24, v9
	;; [unrolled: 1-line block ×4, first 2 shown]
	v_add_f32_e32 v13, v17, v29
	v_add_f32_e32 v14, v20, v4
	v_sub_f32_e32 v15, v29, v17
	v_sub_f32_e32 v4, v4, v20
	v_add_f32_e32 v16, v10, v6
	v_add_f32_e32 v17, v11, v7
	v_sub_f32_e32 v20, v10, v6
	v_sub_f32_e32 v24, v11, v7
	;; [unrolled: 1-line block ×6, first 2 shown]
	v_add_f32_e32 v28, v15, v12
	v_add_f32_e32 v29, v4, v5
	v_sub_f32_e32 v30, v15, v12
	v_sub_f32_e32 v32, v4, v5
	;; [unrolled: 1-line block ×3, first 2 shown]
	v_add_f32_e32 v13, v13, v16
	v_add_f32_e32 v14, v14, v17
	v_sub_f32_e32 v5, v5, v9
	v_sub_f32_e32 v15, v8, v15
	;; [unrolled: 1-line block ×3, first 2 shown]
	v_add_f32_e32 v8, v28, v8
	v_add_f32_e32 v9, v29, v9
	v_add_f32_e32 v0, v0, v13
	v_add_f32_e32 v1, v1, v14
	v_mul_f32_e32 v6, 0x3f4a47b2, v6
	v_mul_f32_e32 v7, 0x3f4a47b2, v7
	;; [unrolled: 1-line block ×8, first 2 shown]
	v_fmamk_f32 v13, v13, 0xbf955555, v0
	v_fmamk_f32 v14, v14, 0xbf955555, v1
	;; [unrolled: 1-line block ×4, first 2 shown]
	v_fma_f32 v16, 0x3f3bfb3b, v20, -v16
	v_fma_f32 v17, 0x3f3bfb3b, v24, -v17
	;; [unrolled: 1-line block ×4, first 2 shown]
	v_fmamk_f32 v20, v15, 0xbeae86e6, v28
	v_fmamk_f32 v24, v4, 0xbeae86e6, v29
	v_fma_f32 v12, 0xbf5ff5aa, v12, -v28
	v_fma_f32 v28, 0xbf5ff5aa, v5, -v29
	;; [unrolled: 1-line block ×4, first 2 shown]
	v_add_f32_e32 v30, v10, v13
	v_add_f32_e32 v32, v11, v14
	;; [unrolled: 1-line block ×6, first 2 shown]
	v_fmac_f32_e32 v20, 0xbee1c552, v8
	v_fmac_f32_e32 v24, 0xbee1c552, v9
	;; [unrolled: 1-line block ×6, first 2 shown]
	v_add_f32_e32 v4, v24, v30
	v_sub_f32_e32 v5, v32, v20
	v_add_f32_e32 v6, v29, v13
	v_sub_f32_e32 v7, v14, v15
	;; [unrolled: 2-line block ×3, first 2 shown]
	v_sub_f32_e32 v12, v13, v29
	v_add_f32_e32 v13, v15, v14
	v_sub_f32_e32 v14, v30, v24
	v_add_f32_e32 v15, v20, v32
	v_add_f32_e32 v16, v25, v23
	v_add_f32_e32 v17, v21, v35
	v_sub_f32_e32 v20, v25, v23
	v_add_f32_e32 v23, v26, v22
	v_add_f32_e32 v24, v18, v34
	v_sub_f32_e32 v8, v10, v28
	v_add_f32_e32 v10, v28, v10
	v_sub_f32_e32 v21, v21, v35
	v_sub_f32_e32 v22, v26, v22
	;; [unrolled: 1-line block ×3, first 2 shown]
	v_add_f32_e32 v25, v27, v31
	v_add_f32_e32 v26, v19, v33
	v_sub_f32_e32 v27, v31, v27
	v_sub_f32_e32 v19, v33, v19
	v_add_f32_e32 v28, v23, v16
	v_add_f32_e32 v29, v24, v17
	v_sub_f32_e32 v30, v23, v16
	v_sub_f32_e32 v31, v24, v17
	;; [unrolled: 1-line block ×6, first 2 shown]
	v_add_f32_e32 v32, v27, v22
	v_add_f32_e32 v33, v19, v18
	v_sub_f32_e32 v34, v27, v22
	v_sub_f32_e32 v35, v19, v18
	;; [unrolled: 1-line block ×3, first 2 shown]
	v_add_f32_e32 v25, v25, v28
	v_add_f32_e32 v26, v26, v29
	v_sub_f32_e32 v18, v18, v21
	v_sub_f32_e32 v27, v20, v27
	;; [unrolled: 1-line block ×3, first 2 shown]
	v_add_f32_e32 v20, v32, v20
	v_add_f32_e32 v21, v33, v21
	;; [unrolled: 1-line block ×4, first 2 shown]
	v_mul_f32_e32 v16, 0x3f4a47b2, v16
	v_mul_f32_e32 v17, 0x3f4a47b2, v17
	;; [unrolled: 1-line block ×8, first 2 shown]
	v_fmamk_f32 v25, v25, 0xbf955555, v2
	v_fmamk_f32 v26, v26, 0xbf955555, v3
	;; [unrolled: 1-line block ×4, first 2 shown]
	v_fma_f32 v28, 0x3f3bfb3b, v30, -v28
	v_fma_f32 v29, 0x3f3bfb3b, v31, -v29
	;; [unrolled: 1-line block ×4, first 2 shown]
	v_fmamk_f32 v30, v27, 0xbeae86e6, v32
	v_fmamk_f32 v31, v19, 0xbeae86e6, v33
	v_fma_f32 v32, 0xbf5ff5aa, v22, -v32
	v_fma_f32 v22, 0xbf5ff5aa, v18, -v33
	;; [unrolled: 1-line block ×4, first 2 shown]
	v_add_f32_e32 v34, v23, v25
	v_add_f32_e32 v35, v24, v26
	;; [unrolled: 1-line block ×6, first 2 shown]
	v_fmac_f32_e32 v30, 0xbee1c552, v20
	v_fmac_f32_e32 v31, 0xbee1c552, v21
	;; [unrolled: 1-line block ×6, first 2 shown]
	v_add_f32_e32 v16, v31, v34
	v_sub_f32_e32 v17, v35, v30
	v_add_f32_e32 v18, v33, v25
	v_sub_f32_e32 v19, v26, v27
	v_sub_f32_e32 v20, v23, v22
	v_add_f32_e32 v21, v32, v24
	v_add_f32_e32 v22, v22, v23
	v_sub_f32_e32 v23, v24, v32
	v_sub_f32_e32 v24, v25, v33
	v_add_f32_e32 v25, v27, v26
	v_sub_f32_e32 v26, v34, v31
	v_add_f32_e32 v27, v30, v35
	ds_write_b64 v173, v[4:5] offset:1080
	ds_write_b64 v173, v[6:7] offset:2160
	;; [unrolled: 1-line block ×6, first 2 shown]
	ds_write2_b64 v173, v[0:1], v[2:3] offset1:63
	ds_write_b64 v173, v[16:17] offset:1584
	ds_write_b64 v173, v[18:19] offset:2664
	;; [unrolled: 1-line block ×6, first 2 shown]
	s_and_saveexec_b32 s0, vcc_lo
	s_cbranch_execz .LBB0_9
; %bb.8:
	v_mul_f32_e32 v8, v51, v112
	v_mul_f32_e32 v11, v45, v102
	;; [unrolled: 1-line block ×6, first 2 shown]
	v_fma_f32 v8, v50, v113, -v8
	v_fma_f32 v11, v44, v103, -v11
	;; [unrolled: 1-line block ×6, first 2 shown]
	v_mul_f32_e32 v0, v45, v103
	v_mul_f32_e32 v1, v43, v109
	v_mul_f32_e32 v2, v41, v107
	v_mul_f32_e32 v3, v47, v105
	v_mul_f32_e32 v4, v49, v111
	v_mul_f32_e32 v5, v51, v113
	v_add_f32_e32 v17, v8, v11
	v_add_f32_e32 v18, v13, v14
	;; [unrolled: 1-line block ×3, first 2 shown]
	v_fmac_f32_e32 v1, v42, v108
	v_fmac_f32_e32 v2, v40, v106
	;; [unrolled: 1-line block ×6, first 2 shown]
	v_add_f32_e32 v21, v18, v17
	v_sub_f32_e32 v22, v17, v20
	v_sub_f32_e32 v6, v1, v2
	;; [unrolled: 1-line block ×4, first 2 shown]
	v_add_f32_e32 v21, v20, v21
	v_add_f32_e32 v5, v5, v0
	;; [unrolled: 1-line block ×3, first 2 shown]
	v_sub_f32_e32 v0, v20, v18
	v_mul_f32_e32 v20, 0x3f4a47b2, v22
	v_add_f32_e32 v2, v2, v1
	v_sub_f32_e32 v10, v6, v7
	v_sub_f32_e32 v12, v9, v6
	v_add_f32_e32 v6, v6, v7
	v_add_f32_e32 v1, v101, v21
	;; [unrolled: 1-line block ×3, first 2 shown]
	v_mul_f32_e32 v22, 0x3d64c772, v0
	v_fmamk_f32 v23, v0, 0x3d64c772, v20
	v_sub_f32_e32 v0, v5, v2
	v_sub_f32_e32 v15, v16, v15
	;; [unrolled: 1-line block ×5, first 2 shown]
	v_mul_f32_e32 v10, 0x3f08b237, v10
	v_add_f32_e32 v6, v6, v9
	v_fmamk_f32 v21, v21, 0xbf955555, v1
	v_add_f32_e32 v3, v2, v3
	v_mul_f32_e32 v14, 0x3f4a47b2, v0
	v_sub_f32_e32 v2, v2, v4
	v_sub_f32_e32 v11, v15, v13
	v_mul_f32_e32 v9, 0xbf5ff5aa, v7
	v_sub_f32_e32 v17, v18, v17
	v_sub_f32_e32 v4, v4, v5
	v_sub_f32_e32 v5, v13, v8
	v_fmamk_f32 v19, v12, 0xbeae86e6, v10
	v_add_f32_e32 v0, v100, v3
	v_add_f32_e32 v16, v23, v21
	v_fmamk_f32 v23, v2, 0x3d64c772, v14
	v_sub_f32_e32 v25, v8, v15
	v_mul_f32_e32 v11, 0x3f08b237, v11
	v_mul_f32_e32 v2, 0x3d64c772, v2
	v_add_f32_e32 v13, v15, v13
	v_fma_f32 v12, 0x3eae86e6, v12, -v9
	v_fma_f32 v9, 0xbf3bfb3b, v17, -v20
	v_mul_f32_e32 v15, 0xbf5ff5aa, v5
	v_fmamk_f32 v24, v3, 0xbf955555, v0
	v_fmamk_f32 v26, v25, 0xbeae86e6, v11
	v_fma_f32 v14, 0xbf3bfb3b, v4, -v14
	v_add_f32_e32 v8, v13, v8
	v_add_f32_e32 v13, v9, v21
	v_fma_f32 v15, 0x3eae86e6, v25, -v15
	v_fma_f32 v9, 0x3f3bfb3b, v17, -v22
	;; [unrolled: 1-line block ×5, first 2 shown]
	v_fmac_f32_e32 v19, 0xbee1c552, v6
	v_add_f32_e32 v23, v23, v24
	v_fmac_f32_e32 v12, 0xbee1c552, v6
	v_add_f32_e32 v14, v14, v24
	;; [unrolled: 2-line block ×3, first 2 shown]
	v_fmac_f32_e32 v10, 0xbee1c552, v6
	v_fmac_f32_e32 v11, 0xbee1c552, v8
	v_add_f32_e32 v2, v2, v24
	v_fmac_f32_e32 v26, 0xbee1c552, v8
	v_add_f32_e32 v5, v12, v13
	v_sub_f32_e32 v4, v14, v15
	v_sub_f32_e32 v7, v9, v10
	v_add_f32_e32 v6, v11, v2
	v_add_f32_e32 v9, v10, v9
	v_sub_f32_e32 v8, v2, v11
	v_sub_f32_e32 v11, v13, v12
	v_add_f32_e32 v10, v15, v14
	v_sub_f32_e32 v13, v16, v19
	v_add_f32_e32 v12, v26, v23
	v_add_nc_u32_e32 v14, 0x200, v173
	v_add_nc_u32_e32 v15, 0xc00, v173
	v_add_f32_e32 v3, v19, v16
	v_add_nc_u32_e32 v16, 0x1400, v173
	v_sub_f32_e32 v2, v23, v26
	ds_write2_b64 v14, v[0:1], v[12:13] offset0:62 offset1:197
	ds_write2_b64 v15, v[10:11], v[8:9] offset0:12 offset1:147
	;; [unrolled: 1-line block ×3, first 2 shown]
	ds_write_b64 v173, v[2:3] offset:7488
.LBB0_9:
	s_or_b32 exec_lo, exec_lo, s0
	v_add_nc_u32_e32 v4, 0x400, v173
	s_waitcnt lgkmcnt(0)
	s_barrier
	buffer_gl0_inv
	ds_read2_b64 v[0:3], v173 offset1:63
	ds_read2_b64 v[4:7], v4 offset0:124 offset1:187
	v_add_nc_u32_e32 v8, 0x1000, v173
	v_mad_u64_u32 v[20:21], null, s10, v146, 0
	v_mad_u64_u32 v[22:23], null, s8, v174, 0
	ds_read2_b64 v[8:11], v8 offset0:118 offset1:181
	v_add_nc_u32_e32 v16, 0x800, v173
	s_mov_b32 s0, 0xbc011567
	s_mov_b32 s1, 0x3f51566a
	ds_read2_b64 v[12:15], v173 offset0:126 offset1:189
	s_mul_i32 s5, s9, 0x9d8
	ds_read2_b64 v[16:19], v16 offset0:122 offset1:185
	s_mul_hi_u32 s6, s8, 0x9d8
	s_mul_i32 s4, s8, 0x9d8
	s_add_i32 s5, s6, s5
	s_waitcnt lgkmcnt(4)
	v_mul_f32_e32 v24, v154, v1
	v_mul_f32_e32 v25, v154, v0
	s_waitcnt lgkmcnt(3)
	v_mul_f32_e32 v26, v170, v7
	v_mul_f32_e32 v27, v170, v6
	;; [unrolled: 1-line block ×3, first 2 shown]
	v_fmac_f32_e32 v24, v153, v0
	v_fma_f32 v1, v153, v1, -v25
	v_fmac_f32_e32 v26, v169, v6
	v_fma_f32 v28, v169, v7, -v27
	v_mov_b32_e32 v0, v21
	v_cvt_f64_f32_e32 v[6:7], v24
	v_cvt_f64_f32_e32 v[24:25], v1
	;; [unrolled: 1-line block ×4, first 2 shown]
	s_waitcnt lgkmcnt(2)
	v_mul_f32_e32 v21, v168, v9
	v_mul_f32_e32 v30, v168, v8
	v_mov_b32_e32 v1, v23
	v_mul_f32_e32 v23, v158, v3
	v_fma_f32 v3, v157, v3, -v34
	v_fmac_f32_e32 v21, v167, v8
	v_fma_f32 v32, v167, v9, -v30
	v_mad_u64_u32 v[8:9], null, s11, v146, v[0:1]
	v_fmac_f32_e32 v23, v157, v2
	v_cvt_f64_f32_e32 v[30:31], v21
	v_cvt_f64_f32_e32 v[32:33], v32
	v_mad_u64_u32 v[0:1], null, s9, v174, v[1:2]
	v_cvt_f64_f32_e32 v[1:2], v23
	v_cvt_f64_f32_e32 v[34:35], v3
	s_waitcnt lgkmcnt(0)
	v_mul_f32_e32 v3, v166, v16
	v_mov_b32_e32 v21, v8
	v_mul_f64 v[6:7], v[6:7], s[0:1]
	v_mul_f64 v[24:25], v[24:25], s[0:1]
	;; [unrolled: 1-line block ×4, first 2 shown]
	v_mov_b32_e32 v23, v0
	v_mul_f32_e32 v0, v166, v17
	v_fma_f32 v3, v165, v17, -v3
	v_lshlrev_b64 v[20:21], 3, v[20:21]
	v_mul_f32_e32 v38, v164, v11
	v_mul_f32_e32 v36, v156, v13
	v_fmac_f32_e32 v0, v165, v16
	v_lshlrev_b64 v[22:23], 3, v[22:23]
	v_mul_f32_e32 v39, v164, v10
	v_fmac_f32_e32 v38, v163, v10
	v_mul_f64 v[8:9], v[30:31], s[0:1]
	v_mul_f64 v[16:17], v[32:33], s[0:1]
	v_cvt_f64_f32_e32 v[30:31], v0
	v_cvt_f64_f32_e32 v[32:33], v3
	v_mul_f64 v[0:1], v[1:2], s[0:1]
	v_mul_f64 v[2:3], v[34:35], s[0:1]
	v_add_co_u32 v10, vcc_lo, s2, v20
	v_cvt_f32_f64_e32 v6, v[6:7]
	v_cvt_f32_f64_e32 v7, v[24:25]
	;; [unrolled: 1-line block ×4, first 2 shown]
	v_mul_f32_e32 v37, v156, v12
	v_fmac_f32_e32 v36, v155, v12
	v_add_co_ci_u32_e32 v12, vcc_lo, s3, v21, vcc_lo
	v_add_co_u32 v10, vcc_lo, v10, v22
	v_fma_f32 v28, v163, v11, -v39
	v_add_co_ci_u32_e32 v11, vcc_lo, v12, v23, vcc_lo
	s_mul_hi_u32 s2, s8, 0xffffee48
	v_cvt_f32_f64_e32 v8, v[8:9]
	v_cvt_f32_f64_e32 v9, v[16:17]
	v_add_co_u32 v16, vcc_lo, v10, s4
	v_add_co_ci_u32_e32 v17, vcc_lo, s5, v11, vcc_lo
	v_cvt_f32_f64_e32 v26, v[0:1]
	v_fma_f32 v0, v155, v13, -v37
	v_add_nc_u32_e32 v1, 0x1400, v173
	v_mul_f64 v[20:21], v[30:31], s[0:1]
	v_mul_f64 v[22:23], v[32:33], s[0:1]
	global_store_dwordx2 v[10:11], v[6:7], off
	global_store_dwordx2 v[16:17], v[24:25], off
	v_cvt_f64_f32_e32 v[24:25], v36
	v_add_co_u32 v12, vcc_lo, v16, s4
	v_cvt_f32_f64_e32 v27, v[2:3]
	v_add_co_ci_u32_e32 v13, vcc_lo, s5, v17, vcc_lo
	v_cvt_f64_f32_e32 v[16:17], v0
	ds_read2_b64 v[0:3], v1 offset0:116 offset1:179
	v_cvt_f64_f32_e32 v[6:7], v38
	v_cvt_f64_f32_e32 v[10:11], v28
	s_mul_i32 s3, s9, 0xffffee48
	s_sub_i32 s2, s2, s8
	global_store_dwordx2 v[12:13], v[8:9], off
	s_add_i32 s2, s2, s3
	s_mul_i32 s3, s8, 0xffffee48
	v_mul_f32_e32 v28, v148, v15
	v_add_co_u32 v8, vcc_lo, v12, s3
	v_add_co_ci_u32_e32 v9, vcc_lo, s2, v13, vcc_lo
	v_cvt_f32_f64_e32 v12, v[20:21]
	v_cvt_f32_f64_e32 v13, v[22:23]
	v_mul_f32_e32 v22, v162, v19
	v_mul_f64 v[20:21], v[24:25], s[0:1]
	v_mul_f32_e32 v29, v148, v14
	global_store_dwordx2 v[8:9], v[26:27], off
	v_mul_f32_e32 v34, v141, v5
	s_waitcnt lgkmcnt(0)
	v_mul_f32_e32 v25, v160, v0
	v_fmac_f32_e32 v22, v161, v18
	v_mul_f32_e32 v24, v160, v1
	v_mul_f64 v[6:7], v[6:7], s[0:1]
	v_mul_f64 v[10:11], v[10:11], s[0:1]
	v_fma_f32 v26, v159, v1, -v25
	v_cvt_f64_f32_e32 v[22:23], v22
	v_fmac_f32_e32 v24, v159, v0
	v_add_co_u32 v0, vcc_lo, v8, s4
	v_cvt_f64_f32_e32 v[26:27], v26
	v_add_co_ci_u32_e32 v1, vcc_lo, s5, v9, vcc_lo
	v_add_nc_u32_e32 v8, 0xc00, v173
	v_mul_f32_e32 v18, v162, v18
	v_cvt_f64_f32_e32 v[24:25], v24
	global_store_dwordx2 v[0:1], v[12:13], off
	v_mul_f64 v[16:17], v[16:17], s[0:1]
	v_fmac_f32_e32 v28, v147, v14
	v_fma_f32 v18, v161, v19, -v18
	v_fma_f32 v29, v147, v15, -v29
	v_mul_f32_e32 v32, v145, v3
	v_mul_f32_e32 v33, v145, v2
	v_fmac_f32_e32 v34, v140, v4
	v_cvt_f64_f32_e32 v[18:19], v18
	v_cvt_f32_f64_e32 v12, v[6:7]
	ds_read2_b64 v[6:9], v8 offset0:120 offset1:183
	v_cvt_f32_f64_e32 v13, v[10:11]
	v_cvt_f32_f64_e32 v10, v[20:21]
	v_mul_f64 v[20:21], v[22:23], s[0:1]
	v_mul_f32_e32 v4, v141, v4
	v_fmac_f32_e32 v32, v144, v2
	v_mul_f64 v[22:23], v[26:27], s[0:1]
	ds_read_b64 v[26:27], v173 offset:7056
	v_fma_f32 v33, v144, v3, -v33
	v_fma_f32 v4, v140, v5, -v4
	v_cvt_f64_f32_e32 v[34:35], v34
	v_mul_f64 v[14:15], v[24:25], s[0:1]
	v_cvt_f64_f32_e32 v[24:25], v28
	v_cvt_f64_f32_e32 v[28:29], v29
	v_cvt_f32_f64_e32 v11, v[16:17]
	v_cvt_f64_f32_e32 v[4:5], v4
	v_add_co_u32 v0, vcc_lo, v0, s4
	v_add_co_ci_u32_e32 v1, vcc_lo, s5, v1, vcc_lo
	s_waitcnt lgkmcnt(1)
	v_mul_f32_e32 v30, v143, v7
	v_mul_f32_e32 v31, v143, v6
	;; [unrolled: 1-line block ×4, first 2 shown]
	v_mul_f64 v[18:19], v[18:19], s[0:1]
	v_fmac_f32_e32 v30, v142, v6
	v_fma_f32 v6, v142, v7, -v31
	s_waitcnt lgkmcnt(0)
	v_mul_f32_e32 v38, v152, v27
	v_mul_f32_e32 v39, v152, v26
	v_fmac_f32_e32 v36, v149, v8
	v_fma_f32 v37, v149, v9, -v37
	v_cvt_f64_f32_e32 v[2:3], v30
	v_cvt_f64_f32_e32 v[6:7], v6
	v_fmac_f32_e32 v38, v151, v26
	v_fma_f32 v39, v151, v27, -v39
	v_cvt_f64_f32_e32 v[30:31], v32
	v_cvt_f64_f32_e32 v[32:33], v33
	;; [unrolled: 1-line block ×6, first 2 shown]
	v_add_co_u32 v16, vcc_lo, v0, s3
	v_add_co_ci_u32_e32 v17, vcc_lo, s2, v1, vcc_lo
	global_store_dwordx2 v[0:1], v[12:13], off
	global_store_dwordx2 v[16:17], v[10:11], off
	v_mul_f64 v[10:11], v[24:25], s[0:1]
	v_mul_f64 v[12:13], v[28:29], s[0:1]
	v_cvt_f32_f64_e32 v0, v[20:21]
	v_cvt_f32_f64_e32 v1, v[18:19]
	;; [unrolled: 1-line block ×3, first 2 shown]
	v_mul_f64 v[2:3], v[2:3], s[0:1]
	v_mul_f64 v[6:7], v[6:7], s[0:1]
	v_cvt_f32_f64_e32 v15, v[22:23]
	v_mul_f64 v[22:23], v[34:35], s[0:1]
	v_mul_f64 v[18:19], v[30:31], s[0:1]
	;; [unrolled: 1-line block ×8, first 2 shown]
	v_add_co_u32 v16, vcc_lo, v16, s4
	v_add_co_ci_u32_e32 v17, vcc_lo, s5, v17, vcc_lo
	v_add_co_u32 v30, vcc_lo, v16, s4
	v_add_co_ci_u32_e32 v31, vcc_lo, s5, v17, vcc_lo
	v_cvt_f32_f64_e32 v10, v[10:11]
	v_cvt_f32_f64_e32 v11, v[12:13]
	v_add_co_u32 v12, vcc_lo, v30, s3
	v_add_co_ci_u32_e32 v13, vcc_lo, s2, v31, vcc_lo
	v_cvt_f32_f64_e32 v2, v[2:3]
	v_cvt_f32_f64_e32 v3, v[6:7]
	;; [unrolled: 4-line block ×3, first 2 shown]
	v_cvt_f32_f64_e32 v20, v[22:23]
	v_cvt_f32_f64_e32 v21, v[4:5]
	;; [unrolled: 1-line block ×6, first 2 shown]
	v_add_co_u32 v22, vcc_lo, v6, s4
	v_add_co_ci_u32_e32 v23, vcc_lo, s5, v7, vcc_lo
	global_store_dwordx2 v[16:17], v[0:1], off
	v_add_co_u32 v0, vcc_lo, v22, s3
	v_add_co_ci_u32_e32 v1, vcc_lo, s2, v23, vcc_lo
	global_store_dwordx2 v[30:31], v[14:15], off
	;; [unrolled: 3-line block ×4, first 2 shown]
	global_store_dwordx2 v[22:23], v[18:19], off
	global_store_dwordx2 v[0:1], v[20:21], off
	;; [unrolled: 1-line block ×4, first 2 shown]
.LBB0_10:
	s_endpgm
	.section	.rodata,"a",@progbits
	.p2align	6, 0x0
	.amdhsa_kernel bluestein_single_back_len945_dim1_sp_op_CI_CI
		.amdhsa_group_segment_fixed_size 7560
		.amdhsa_private_segment_fixed_size 0
		.amdhsa_kernarg_size 104
		.amdhsa_user_sgpr_count 6
		.amdhsa_user_sgpr_private_segment_buffer 1
		.amdhsa_user_sgpr_dispatch_ptr 0
		.amdhsa_user_sgpr_queue_ptr 0
		.amdhsa_user_sgpr_kernarg_segment_ptr 1
		.amdhsa_user_sgpr_dispatch_id 0
		.amdhsa_user_sgpr_flat_scratch_init 0
		.amdhsa_user_sgpr_private_segment_size 0
		.amdhsa_wavefront_size32 1
		.amdhsa_uses_dynamic_stack 0
		.amdhsa_system_sgpr_private_segment_wavefront_offset 0
		.amdhsa_system_sgpr_workgroup_id_x 1
		.amdhsa_system_sgpr_workgroup_id_y 0
		.amdhsa_system_sgpr_workgroup_id_z 0
		.amdhsa_system_sgpr_workgroup_info 0
		.amdhsa_system_vgpr_workitem_id 0
		.amdhsa_next_free_vgpr 235
		.amdhsa_next_free_sgpr 20
		.amdhsa_reserve_vcc 1
		.amdhsa_reserve_flat_scratch 0
		.amdhsa_float_round_mode_32 0
		.amdhsa_float_round_mode_16_64 0
		.amdhsa_float_denorm_mode_32 3
		.amdhsa_float_denorm_mode_16_64 3
		.amdhsa_dx10_clamp 1
		.amdhsa_ieee_mode 1
		.amdhsa_fp16_overflow 0
		.amdhsa_workgroup_processor_mode 1
		.amdhsa_memory_ordered 1
		.amdhsa_forward_progress 0
		.amdhsa_shared_vgpr_count 0
		.amdhsa_exception_fp_ieee_invalid_op 0
		.amdhsa_exception_fp_denorm_src 0
		.amdhsa_exception_fp_ieee_div_zero 0
		.amdhsa_exception_fp_ieee_overflow 0
		.amdhsa_exception_fp_ieee_underflow 0
		.amdhsa_exception_fp_ieee_inexact 0
		.amdhsa_exception_int_div_zero 0
	.end_amdhsa_kernel
	.text
.Lfunc_end0:
	.size	bluestein_single_back_len945_dim1_sp_op_CI_CI, .Lfunc_end0-bluestein_single_back_len945_dim1_sp_op_CI_CI
                                        ; -- End function
	.section	.AMDGPU.csdata,"",@progbits
; Kernel info:
; codeLenInByte = 15876
; NumSgprs: 22
; NumVgprs: 235
; ScratchSize: 0
; MemoryBound: 0
; FloatMode: 240
; IeeeMode: 1
; LDSByteSize: 7560 bytes/workgroup (compile time only)
; SGPRBlocks: 2
; VGPRBlocks: 29
; NumSGPRsForWavesPerEU: 22
; NumVGPRsForWavesPerEU: 235
; Occupancy: 4
; WaveLimiterHint : 1
; COMPUTE_PGM_RSRC2:SCRATCH_EN: 0
; COMPUTE_PGM_RSRC2:USER_SGPR: 6
; COMPUTE_PGM_RSRC2:TRAP_HANDLER: 0
; COMPUTE_PGM_RSRC2:TGID_X_EN: 1
; COMPUTE_PGM_RSRC2:TGID_Y_EN: 0
; COMPUTE_PGM_RSRC2:TGID_Z_EN: 0
; COMPUTE_PGM_RSRC2:TIDIG_COMP_CNT: 0
	.text
	.p2alignl 6, 3214868480
	.fill 48, 4, 3214868480
	.type	__hip_cuid_ea223d59c00b494b,@object ; @__hip_cuid_ea223d59c00b494b
	.section	.bss,"aw",@nobits
	.globl	__hip_cuid_ea223d59c00b494b
__hip_cuid_ea223d59c00b494b:
	.byte	0                               ; 0x0
	.size	__hip_cuid_ea223d59c00b494b, 1

	.ident	"AMD clang version 19.0.0git (https://github.com/RadeonOpenCompute/llvm-project roc-6.4.0 25133 c7fe45cf4b819c5991fe208aaa96edf142730f1d)"
	.section	".note.GNU-stack","",@progbits
	.addrsig
	.addrsig_sym __hip_cuid_ea223d59c00b494b
	.amdgpu_metadata
---
amdhsa.kernels:
  - .args:
      - .actual_access:  read_only
        .address_space:  global
        .offset:         0
        .size:           8
        .value_kind:     global_buffer
      - .actual_access:  read_only
        .address_space:  global
        .offset:         8
        .size:           8
        .value_kind:     global_buffer
      - .actual_access:  read_only
        .address_space:  global
        .offset:         16
        .size:           8
        .value_kind:     global_buffer
      - .actual_access:  read_only
        .address_space:  global
        .offset:         24
        .size:           8
        .value_kind:     global_buffer
      - .actual_access:  read_only
        .address_space:  global
        .offset:         32
        .size:           8
        .value_kind:     global_buffer
      - .offset:         40
        .size:           8
        .value_kind:     by_value
      - .address_space:  global
        .offset:         48
        .size:           8
        .value_kind:     global_buffer
      - .address_space:  global
        .offset:         56
        .size:           8
        .value_kind:     global_buffer
      - .address_space:  global
        .offset:         64
        .size:           8
        .value_kind:     global_buffer
      - .address_space:  global
        .offset:         72
        .size:           8
        .value_kind:     global_buffer
      - .offset:         80
        .size:           4
        .value_kind:     by_value
      - .address_space:  global
        .offset:         88
        .size:           8
        .value_kind:     global_buffer
      - .address_space:  global
        .offset:         96
        .size:           8
        .value_kind:     global_buffer
    .group_segment_fixed_size: 7560
    .kernarg_segment_align: 8
    .kernarg_segment_size: 104
    .language:       OpenCL C
    .language_version:
      - 2
      - 0
    .max_flat_workgroup_size: 63
    .name:           bluestein_single_back_len945_dim1_sp_op_CI_CI
    .private_segment_fixed_size: 0
    .sgpr_count:     22
    .sgpr_spill_count: 0
    .symbol:         bluestein_single_back_len945_dim1_sp_op_CI_CI.kd
    .uniform_work_group_size: 1
    .uses_dynamic_stack: false
    .vgpr_count:     235
    .vgpr_spill_count: 0
    .wavefront_size: 32
    .workgroup_processor_mode: 1
amdhsa.target:   amdgcn-amd-amdhsa--gfx1030
amdhsa.version:
  - 1
  - 2
...

	.end_amdgpu_metadata
